;; amdgpu-corpus repo=ROCm/rocFFT kind=compiled arch=gfx1201 opt=O3
	.text
	.amdgcn_target "amdgcn-amd-amdhsa--gfx1201"
	.amdhsa_code_object_version 6
	.protected	bluestein_single_fwd_len112_dim1_half_op_CI_CI ; -- Begin function bluestein_single_fwd_len112_dim1_half_op_CI_CI
	.globl	bluestein_single_fwd_len112_dim1_half_op_CI_CI
	.p2align	8
	.type	bluestein_single_fwd_len112_dim1_half_op_CI_CI,@function
bluestein_single_fwd_len112_dim1_half_op_CI_CI: ; @bluestein_single_fwd_len112_dim1_half_op_CI_CI
; %bb.0:
	s_load_b128 s[4:7], s[0:1], 0x28
	v_lshrrev_b32_e32 v1, 4, v0
	v_mov_b32_e32 v9, 0
	s_mov_b32 s2, exec_lo
	s_delay_alu instid0(VALU_DEP_2) | instskip(SKIP_1) | instid1(VALU_DEP_1)
	v_lshl_or_b32 v8, ttmp9, 4, v1
	s_wait_kmcnt 0x0
	v_cmpx_gt_u64_e64 s[4:5], v[8:9]
	s_cbranch_execz .LBB0_15
; %bb.1:
	s_clause 0x1
	s_load_b64 s[24:25], s[0:1], 0x0
	s_load_b64 s[4:5], s[0:1], 0x38
	v_and_b32_e32 v26, 15, v0
	v_mul_u32_u24_e32 v27, 0x70, v1
	s_delay_alu instid0(VALU_DEP_2) | instskip(SKIP_1) | instid1(VALU_DEP_3)
	v_cmp_gt_u32_e32 vcc_lo, 7, v26
	v_lshlrev_b32_e32 v23, 2, v26
	v_or_b32_e32 v17, v27, v26
	v_add_lshl_u32 v1, v27, v26, 2
	v_or_b32_e32 v24, 56, v26
	s_and_saveexec_b32 s3, vcc_lo
	s_cbranch_execz .LBB0_3
; %bb.2:
	s_load_b64 s[8:9], s[0:1], 0x18
	s_wait_kmcnt 0x0
	s_load_b128 s[8:11], s[8:9], 0x0
	s_clause 0xf
	global_load_b32 v13, v23, s[24:25]
	global_load_b32 v14, v23, s[24:25] offset:28
	global_load_b32 v15, v23, s[24:25] offset:56
	;; [unrolled: 1-line block ×15, first 2 shown]
	s_wait_kmcnt 0x0
	v_mad_co_u64_u32 v[2:3], null, s10, v8, 0
	v_mad_co_u64_u32 v[4:5], null, s8, v26, 0
	;; [unrolled: 1-line block ×3, first 2 shown]
	s_delay_alu instid0(VALU_DEP_3) | instskip(NEXT) | instid1(VALU_DEP_1)
	v_mov_b32_e32 v0, v3
	v_mad_co_u64_u32 v[9:10], null, s11, v8, v[0:1]
	s_delay_alu instid0(VALU_DEP_3) | instskip(SKIP_1) | instid1(VALU_DEP_2)
	v_dual_mov_b32 v0, v5 :: v_dual_mov_b32 v5, v7
	s_mul_u64 s[10:11], s[8:9], 28
	v_mov_b32_e32 v3, v9
	s_delay_alu instid0(VALU_DEP_2) | instskip(NEXT) | instid1(VALU_DEP_3)
	v_mad_co_u64_u32 v[10:11], null, s9, v26, v[0:1]
	v_mad_co_u64_u32 v[11:12], null, s9, v24, v[5:6]
	s_delay_alu instid0(VALU_DEP_3) | instskip(NEXT) | instid1(VALU_DEP_3)
	v_lshlrev_b64_e32 v[2:3], 2, v[2:3]
	v_mov_b32_e32 v5, v10
	s_delay_alu instid0(VALU_DEP_3) | instskip(NEXT) | instid1(VALU_DEP_3)
	v_mov_b32_e32 v7, v11
	v_add_co_u32 v0, s2, s6, v2
	s_delay_alu instid0(VALU_DEP_3) | instskip(SKIP_1) | instid1(VALU_DEP_4)
	v_lshlrev_b64_e32 v[4:5], 2, v[4:5]
	v_add_co_ci_u32_e64 v9, s2, s7, v3, s2
	v_lshlrev_b64_e32 v[2:3], 2, v[6:7]
	s_delay_alu instid0(VALU_DEP_3) | instskip(SKIP_1) | instid1(VALU_DEP_3)
	v_add_co_u32 v4, s2, v0, v4
	s_wait_alu 0xf1ff
	v_add_co_ci_u32_e64 v5, s2, v9, v5, s2
	s_delay_alu instid0(VALU_DEP_3)
	v_add_co_u32 v2, s2, v0, v2
	s_wait_alu 0xf1ff
	v_add_co_ci_u32_e64 v3, s2, v9, v3, s2
	s_wait_alu 0xfffe
	v_add_co_u32 v6, s2, v4, s10
	s_wait_alu 0xf1ff
	v_add_co_ci_u32_e64 v7, s2, s11, v5, s2
	s_clause 0x2
	global_load_b32 v34, v[4:5], off
	global_load_b32 v36, v[6:7], off
	;; [unrolled: 1-line block ×3, first 2 shown]
	v_add_co_u32 v4, s2, v6, s10
	s_wait_alu 0xf1ff
	v_add_co_ci_u32_e64 v5, s2, s11, v7, s2
	s_delay_alu instid0(VALU_DEP_2) | instskip(SKIP_1) | instid1(VALU_DEP_2)
	v_add_co_u32 v2, s2, v4, s10
	s_wait_alu 0xf1ff
	v_add_co_ci_u32_e64 v3, s2, s11, v5, s2
	global_load_b32 v37, v[4:5], off
	v_add_co_u32 v6, s2, v2, s10
	global_load_b32 v38, v[2:3], off
	s_wait_alu 0xf1ff
	v_add_co_ci_u32_e64 v7, s2, s11, v3, s2
	v_add_co_u32 v9, s2, v6, s10
	s_wait_alu 0xf1ff
	s_delay_alu instid0(VALU_DEP_2) | instskip(NEXT) | instid1(VALU_DEP_2)
	v_add_co_ci_u32_e64 v10, s2, s11, v7, s2
	v_add_co_u32 v4, s2, v9, s10
	global_load_b32 v39, v[6:7], off
	global_load_b32 v9, v[9:10], off
	s_wait_alu 0xf1ff
	v_add_co_ci_u32_e64 v5, s2, s11, v10, s2
	v_add_co_u32 v2, s2, v4, s10
	s_wait_alu 0xf1ff
	s_delay_alu instid0(VALU_DEP_2) | instskip(NEXT) | instid1(VALU_DEP_1)
	v_add_co_ci_u32_e64 v3, s2, s11, v5, s2
	v_mad_co_u64_u32 v[11:12], null, s8, 56, v[2:3]
	s_delay_alu instid0(VALU_DEP_1) | instskip(NEXT) | instid1(VALU_DEP_1)
	v_mov_b32_e32 v0, v12
	v_mad_co_u64_u32 v[6:7], null, s9, 56, v[0:1]
	global_load_b32 v0, v[4:5], off
	global_load_b32 v10, v[2:3], off
	v_add_co_u32 v2, s2, v11, s10
	v_mov_b32_e32 v12, v6
	s_wait_alu 0xf1ff
	s_delay_alu instid0(VALU_DEP_1) | instskip(NEXT) | instid1(VALU_DEP_3)
	v_add_co_ci_u32_e64 v3, s2, s11, v12, s2
	v_add_co_u32 v4, s2, v2, s10
	global_load_b32 v11, v[11:12], off
	s_wait_alu 0xf1ff
	v_add_co_ci_u32_e64 v5, s2, s11, v3, s2
	global_load_b32 v12, v[2:3], off
	v_add_co_u32 v2, s2, v4, s10
	s_wait_alu 0xf1ff
	v_add_co_ci_u32_e64 v3, s2, s11, v5, s2
	global_load_b32 v40, v[4:5], off
	v_add_co_u32 v4, s2, v2, s10
	;; [unrolled: 4-line block ×3, first 2 shown]
	s_wait_alu 0xf1ff
	v_add_co_ci_u32_e64 v3, s2, s11, v5, s2
	s_delay_alu instid0(VALU_DEP_2) | instskip(SKIP_1) | instid1(VALU_DEP_2)
	v_add_co_u32 v6, s2, v2, s10
	s_wait_alu 0xf1ff
	v_add_co_ci_u32_e64 v7, s2, s11, v3, s2
	global_load_b32 v4, v[4:5], off
	global_load_b32 v2, v[2:3], off
	;; [unrolled: 1-line block ×3, first 2 shown]
	v_lshlrev_b32_e32 v5, 2, v17
	v_lshl_add_u32 v6, v27, 2, v23
	s_wait_loadcnt 0x1f
	v_lshrrev_b32_e32 v7, 16, v13
	s_wait_loadcnt 0x1e
	v_lshrrev_b32_e32 v42, 16, v14
	s_wait_loadcnt 0x17
	v_lshrrev_b32_e32 v49, 16, v22
	v_lshrrev_b32_e32 v43, 16, v15
	v_lshrrev_b32_e32 v44, 16, v16
	;; [unrolled: 1-line block ×6, first 2 shown]
	s_wait_loadcnt 0x16
	v_lshrrev_b32_e32 v50, 16, v25
	s_wait_loadcnt 0x15
	v_lshrrev_b32_e32 v51, 16, v28
	;; [unrolled: 2-line block ×8, first 2 shown]
	v_mul_f16_e32 v57, v7, v34
	s_wait_loadcnt 0xe
	v_mul_f16_e32 v61, v42, v36
	s_wait_loadcnt 0xd
	v_lshrrev_b32_e32 v59, 16, v35
	v_mul_f16_e32 v7, v7, v56
	v_fma_f16 v56, v13, v56, -v57
	v_lshrrev_b32_e32 v57, 16, v36
	v_mul_f16_e32 v60, v49, v35
	v_mul_f16_e32 v49, v49, v59
	v_fmac_f16_e32 v7, v13, v34
	s_delay_alu instid0(VALU_DEP_4)
	v_mul_f16_e32 v13, v42, v57
	v_fma_f16 v34, v14, v57, -v61
	s_wait_loadcnt 0xc
	v_lshrrev_b32_e32 v42, 16, v37
	v_mul_f16_e32 v57, v43, v37
	v_fmac_f16_e32 v49, v22, v35
	v_pack_b32_f16 v7, v7, v56
	v_fmac_f16_e32 v13, v14, v36
	v_mul_f16_e32 v14, v43, v42
	s_wait_loadcnt 0xb
	v_lshrrev_b32_e32 v35, 16, v38
	v_fma_f16 v59, v22, v59, -v60
	v_fma_f16 v22, v15, v42, -v57
	v_mul_f16_e32 v36, v44, v38
	ds_store_b32 v5, v7
	v_pack_b32_f16 v5, v13, v34
	v_fmac_f16_e32 v14, v15, v37
	v_mul_f16_e32 v7, v44, v35
	s_wait_loadcnt 0xa
	v_lshrrev_b32_e32 v15, 16, v39
	v_fma_f16 v13, v16, v35, -v36
	v_mul_f16_e32 v34, v45, v39
	ds_store_b32 v1, v5 offset:28
	v_pack_b32_f16 v5, v14, v22
	v_fmac_f16_e32 v7, v16, v38
	v_mul_f16_e32 v14, v45, v15
	s_wait_loadcnt 0x9
	v_lshrrev_b32_e32 v16, 16, v9
	v_mul_f16_e32 v22, v46, v9
	v_fma_f16 v15, v18, v15, -v34
	v_pack_b32_f16 v7, v7, v13
	v_fmac_f16_e32 v14, v18, v39
	v_mul_f16_e32 v13, v46, v16
	v_fma_f16 v16, v19, v16, -v22
	v_pack_b32_f16 v42, v49, v59
	ds_store_2addr_b32 v6, v5, v7 offset0:14 offset1:21
	v_pack_b32_f16 v5, v14, v15
	v_fmac_f16_e32 v13, v19, v9
	s_delay_alu instid0(VALU_DEP_1)
	v_pack_b32_f16 v13, v13, v16
	s_wait_loadcnt 0x8
	v_lshrrev_b32_e32 v18, 16, v0
	v_mul_f16_e32 v22, v47, v0
	s_wait_loadcnt 0x7
	v_lshrrev_b32_e32 v9, 16, v10
	v_mul_f16_e32 v14, v48, v10
	ds_store_2addr_b32 v6, v5, v13 offset0:28 offset1:35
	v_mul_f16_e32 v7, v47, v18
	v_fma_f16 v15, v20, v18, -v22
	s_delay_alu instid0(VALU_DEP_2) | instskip(SKIP_2) | instid1(VALU_DEP_3)
	v_fmac_f16_e32 v7, v20, v0
	v_mul_f16_e32 v0, v48, v9
	v_fma_f16 v9, v21, v9, -v14
	v_pack_b32_f16 v5, v7, v15
	s_wait_loadcnt 0x6
	v_lshrrev_b32_e32 v14, 16, v11
	v_fmac_f16_e32 v0, v21, v10
	v_mul_f16_e32 v7, v50, v11
	s_wait_loadcnt 0x5
	v_lshrrev_b32_e32 v13, 16, v12
	v_mul_f16_e32 v15, v51, v12
	v_mul_f16_e32 v10, v50, v14
	v_pack_b32_f16 v0, v0, v9
	v_fma_f16 v7, v25, v14, -v7
	v_mul_f16_e32 v9, v51, v13
	s_wait_loadcnt 0x4
	v_mul_f16_e32 v14, v52, v40
	v_fmac_f16_e32 v10, v25, v11
	v_fma_f16 v11, v28, v13, -v15
	v_lshrrev_b32_e32 v13, 16, v40
	v_fmac_f16_e32 v9, v28, v12
	s_wait_loadcnt 0x3
	v_mul_f16_e32 v15, v53, v41
	v_pack_b32_f16 v7, v10, v7
	v_lshrrev_b32_e32 v10, 16, v41
	v_mul_f16_e32 v12, v52, v13
	v_fma_f16 v13, v29, v13, -v14
	v_pack_b32_f16 v9, v9, v11
	s_delay_alu instid0(VALU_DEP_4)
	v_mul_f16_e32 v11, v53, v10
	s_wait_loadcnt 0x2
	v_lshrrev_b32_e32 v14, 16, v4
	v_fma_f16 v10, v30, v10, -v15
	v_mul_f16_e32 v15, v54, v4
	s_wait_loadcnt 0x1
	v_lshrrev_b32_e32 v16, 16, v2
	s_wait_loadcnt 0x0
	v_lshrrev_b32_e32 v18, 16, v3
	v_mul_f16_e32 v19, v54, v14
	v_mul_f16_e32 v22, v58, v3
	v_fma_f16 v14, v31, v14, -v15
	v_mul_f16_e32 v15, v55, v2
	v_mul_f16_e32 v20, v55, v16
	;; [unrolled: 1-line block ×3, first 2 shown]
	v_fmac_f16_e32 v12, v29, v40
	v_fmac_f16_e32 v11, v30, v41
	;; [unrolled: 1-line block ×3, first 2 shown]
	v_fma_f16 v4, v32, v16, -v15
	v_fmac_f16_e32 v20, v32, v2
	v_fmac_f16_e32 v21, v33, v3
	v_fma_f16 v2, v33, v18, -v22
	v_pack_b32_f16 v3, v12, v13
	v_pack_b32_f16 v10, v11, v10
	;; [unrolled: 1-line block ×5, first 2 shown]
	ds_store_2addr_b32 v6, v5, v0 offset0:42 offset1:49
	ds_store_2addr_b32 v6, v42, v7 offset0:56 offset1:63
	;; [unrolled: 1-line block ×5, first 2 shown]
.LBB0_3:
	s_or_b32 exec_lo, exec_lo, s3
	s_clause 0x1
	s_load_b64 s[2:3], s[0:1], 0x20
	s_load_b64 s[0:1], s[0:1], 0x8
	v_lshlrev_b32_e32 v18, 2, v27
	global_wb scope:SCOPE_SE
	s_wait_dscnt 0x0
	s_wait_kmcnt 0x0
	s_barrier_signal -1
	s_barrier_wait -1
	global_inv scope:SCOPE_SE
                                        ; implicit-def: $vgpr15
                                        ; implicit-def: $vgpr9
                                        ; implicit-def: $vgpr2
                                        ; implicit-def: $vgpr13
                                        ; implicit-def: $vgpr0
                                        ; implicit-def: $vgpr11
                                        ; implicit-def: $vgpr4
                                        ; implicit-def: $vgpr6
                                        ; implicit-def: $vgpr16
	s_and_saveexec_b32 s6, vcc_lo
	s_cbranch_execz .LBB0_5
; %bb.4:
	v_lshlrev_b32_e32 v0, 2, v17
	v_lshl_add_u32 v6, v26, 2, v18
	ds_load_b32 v15, v0
	ds_load_b32 v16, v1 offset:28
	ds_load_2addr_b32 v[0:1], v6 offset0:14 offset1:21
	ds_load_2addr_b32 v[2:3], v6 offset0:28 offset1:35
	;; [unrolled: 1-line block ×7, first 2 shown]
.LBB0_5:
	s_wait_alu 0xfffe
	s_or_b32 exec_lo, exec_lo, s6
	s_wait_dscnt 0x1
	v_pk_add_f16 v13, v2, v13 neg_lo:[0,1] neg_hi:[0,1]
	v_pk_add_f16 v9, v15, v9 neg_lo:[0,1] neg_hi:[0,1]
	;; [unrolled: 1-line block ×3, first 2 shown]
	s_wait_dscnt 0x0
	v_pk_add_f16 v21, v4, v6 neg_lo:[0,1] neg_hi:[0,1]
	v_pk_add_f16 v14, v3, v14 neg_lo:[0,1] neg_hi:[0,1]
	v_lshrrev_b32_e32 v6, 16, v13
	v_lshrrev_b32_e32 v19, 16, v9
	v_pk_add_f16 v25, v5, v7 neg_lo:[0,1] neg_hi:[0,1]
	v_lshrrev_b32_e32 v20, 16, v21
	v_pk_add_f16 v10, v16, v10 neg_lo:[0,1] neg_hi:[0,1]
	v_sub_f16_e32 v22, v9, v6
	v_lshrrev_b32_e32 v6, 16, v11
	v_add_f16_e32 v28, v13, v19
	v_sub_f16_e32 v29, v11, v20
	v_pk_add_f16 v12, v1, v12 neg_lo:[0,1] neg_hi:[0,1]
	v_fma_f16 v20, v9, 2.0, -v22
	v_add_f16_e32 v30, v21, v6
	v_lshrrev_b32_e32 v7, 16, v14
	v_fma_f16 v32, v19, 2.0, -v28
	v_fma_f16 v19, v11, 2.0, -v29
	v_lshrrev_b32_e32 v36, 16, v25
	v_fma_f16 v33, v6, 2.0, -v30
	v_sub_f16_e32 v34, v10, v7
	v_pk_fma_f16 v9, v15, 2.0, v9 op_sel_hi:[1,0,1] neg_lo:[0,0,1] neg_hi:[0,0,1]
	v_fmamk_f16 v6, v19, 0xb9a8, v20
	v_sub_f16_e32 v36, v12, v36
	v_fmamk_f16 v7, v33, 0xb9a8, v32
	v_pk_fma_f16 v2, v2, 2.0, v13 op_sel_hi:[1,0,1] neg_lo:[0,0,1] neg_hi:[0,0,1]
	v_pk_fma_f16 v0, v0, 2.0, v11 op_sel_hi:[1,0,1] neg_lo:[0,0,1] neg_hi:[0,0,1]
	;; [unrolled: 1-line block ×3, first 2 shown]
	v_lshrrev_b32_e32 v31, 16, v10
	v_lshrrev_b32_e32 v37, 16, v12
	v_fma_f16 v38, v10, 2.0, -v34
	v_fmac_f16_e32 v6, 0xb9a8, v33
	v_fmac_f16_e32 v7, 0x39a8, v19
	v_fma_f16 v33, v12, 2.0, -v36
	v_pk_fma_f16 v10, v16, 2.0, v10 op_sel_hi:[1,0,1] neg_lo:[0,0,1] neg_hi:[0,0,1]
	v_pk_add_f16 v11, v9, v2 neg_lo:[0,1] neg_hi:[0,1]
	v_pk_add_f16 v4, v0, v4 neg_lo:[0,1] neg_hi:[0,1]
	v_pk_fma_f16 v3, v3, 2.0, v14 op_sel_hi:[1,0,1] neg_lo:[0,0,1] neg_hi:[0,0,1]
	v_pk_fma_f16 v12, v1, 2.0, v12 op_sel_hi:[1,0,1] neg_lo:[0,0,1] neg_hi:[0,0,1]
	;; [unrolled: 1-line block ×3, first 2 shown]
	v_add_f16_e32 v35, v14, v31
	v_add_f16_e32 v39, v25, v37
	v_fma_f16 v19, v20, 2.0, -v6
	v_fma_f16 v20, v32, 2.0, -v7
	v_fmamk_f16 v32, v29, 0x39a8, v22
	v_fmamk_f16 v43, v30, 0x39a8, v28
	v_pk_fma_f16 v9, v9, 2.0, v11 op_sel_hi:[1,0,1] neg_lo:[0,0,1] neg_hi:[0,0,1]
	v_pk_fma_f16 v0, v0, 2.0, v4 op_sel_hi:[1,0,1] neg_lo:[0,0,1] neg_hi:[0,0,1]
	v_pk_add_f16 v13, v10, v3 neg_lo:[0,1] neg_hi:[0,1]
	v_pk_add_f16 v14, v12, v5 neg_lo:[0,1] neg_hi:[0,1]
	v_lshrrev_b32_e32 v5, 16, v4
	v_fma_f16 v31, v31, 2.0, -v35
	v_fma_f16 v37, v37, 2.0, -v39
	v_fmac_f16_e32 v32, 0xb9a8, v30
	v_fmac_f16_e32 v43, 0x39a8, v29
	v_pk_add_f16 v0, v9, v0 neg_lo:[0,1] neg_hi:[0,1]
	v_pk_fma_f16 v10, v10, 2.0, v13 op_sel_hi:[1,0,1] neg_lo:[0,0,1] neg_hi:[0,0,1]
	v_pk_fma_f16 v12, v12, 2.0, v14 op_sel_hi:[1,0,1] neg_lo:[0,0,1] neg_hi:[0,0,1]
	v_sub_f16_e32 v5, v11, v5
	v_fma_f16 v1, v22, 2.0, -v32
	v_fma_f16 v2, v28, 2.0, -v43
	v_lshrrev_b32_e32 v15, 16, v11
	v_pk_fma_f16 v3, v9, 2.0, v0 op_sel_hi:[1,0,1] neg_lo:[0,0,1] neg_hi:[0,0,1]
	v_fmamk_f16 v9, v33, 0xb9a8, v38
	v_pk_add_f16 v16, v10, v12 neg_lo:[0,1] neg_hi:[0,1]
	v_fmamk_f16 v28, v37, 0xb9a8, v31
	v_fma_f16 v22, v11, 2.0, -v5
	v_lshrrev_b32_e32 v11, 16, v13
	v_add_f16_e32 v21, v4, v15
	v_fmac_f16_e32 v9, 0xb9a8, v37
	v_pk_fma_f16 v4, v10, 2.0, v16 op_sel_hi:[1,0,1] neg_lo:[0,0,1] neg_hi:[0,0,1]
	v_fmac_f16_e32 v28, 0x39a8, v33
	v_lshrrev_b32_e32 v10, 16, v14
	v_fmamk_f16 v29, v36, 0x39a8, v34
	v_fmamk_f16 v30, v39, 0x39a8, v35
	v_add_f16_e32 v44, v14, v11
	v_fma_f16 v25, v15, 2.0, -v21
	v_fma_f16 v15, v38, 2.0, -v9
	v_sub_f16_e32 v33, v13, v10
	v_fma_f16 v10, v31, 2.0, -v28
	v_fmac_f16_e32 v29, 0xb9a8, v39
	v_fmac_f16_e32 v30, 0x39a8, v36
	v_fma_f16 v31, v11, 2.0, -v44
	v_fma_f16 v14, v13, 2.0, -v33
	v_fmamk_f16 v11, v15, 0xbb64, v19
	v_fma_f16 v34, v34, 2.0, -v29
	v_fma_f16 v35, v35, 2.0, -v30
	v_fmamk_f16 v36, v10, 0xbb64, v20
	v_fmamk_f16 v39, v31, 0xb9a8, v25
	;; [unrolled: 1-line block ×4, first 2 shown]
	v_fmac_f16_e32 v11, 0xb61f, v10
	v_fmamk_f16 v12, v14, 0xb9a8, v22
	v_fmamk_f16 v13, v34, 0xb61f, v1
	;; [unrolled: 1-line block ×3, first 2 shown]
	v_fmac_f16_e32 v36, 0x361f, v15
	v_fmac_f16_e32 v39, 0x39a8, v14
	v_pk_add_f16 v14, v0, v16 op_sel:[0,1] op_sel_hi:[1,0] neg_lo:[0,1] neg_hi:[0,1]
	v_fmamk_f16 v15, v9, 0x361f, v6
	v_pk_add_f16 v10, v0, v16 op_sel:[0,1] op_sel_hi:[1,0]
	v_fmamk_f16 v40, v28, 0x361f, v7
	v_fmamk_f16 v16, v33, 0x39a8, v5
	v_fmamk_f16 v42, v44, 0x39a8, v21
	v_fmac_f16_e32 v37, 0xb61f, v30
	v_fmac_f16_e32 v41, 0x361f, v29
	v_pk_add_f16 v4, v3, v4 neg_lo:[0,1] neg_hi:[0,1]
	v_fmac_f16_e32 v12, 0xb9a8, v31
	v_fmac_f16_e32 v13, 0xbb64, v35
	;; [unrolled: 1-line block ×7, first 2 shown]
	v_fma_f16 v9, v32, 2.0, -v37
	v_fma_f16 v35, v43, 2.0, -v41
	v_lshlrev_b32_e32 v28, 4, v26
	global_wb scope:SCOPE_SE
	s_barrier_signal -1
	s_barrier_wait -1
	global_inv scope:SCOPE_SE
	s_and_saveexec_b32 s6, vcc_lo
	s_cbranch_execz .LBB0_7
; %bb.6:
	v_fma_f16 v30, v21, 2.0, -v42
	v_fma_f16 v1, v1, 2.0, -v13
	;; [unrolled: 1-line block ×7, first 2 shown]
	v_bfi_b32 v29, 0xffff, v14, v10
	v_fma_f16 v5, v5, 2.0, -v16
	v_fma_f16 v6, v6, 2.0, -v15
	v_fma_f16 v7, v7, 2.0, -v40
	v_add_lshl_u32 v33, v27, v28, 2
	v_pk_fma_f16 v19, v3, 2.0, v4 op_sel_hi:[1,0,1] neg_lo:[0,0,1] neg_hi:[0,0,1]
	v_pack_b32_f16 v22, v1, v2
	v_pack_b32_f16 v21, v21, v25
	;; [unrolled: 1-line block ×3, first 2 shown]
	v_pk_fma_f16 v0, v0, 2.0, v29 op_sel_hi:[1,0,1] neg_lo:[0,0,1] neg_hi:[0,0,1]
	v_pack_b32_f16 v2, v5, v30
	v_pack_b32_f16 v1, v6, v7
	v_perm_b32 v3, v35, v9, 0x5040100
	v_perm_b32 v7, v38, v13, 0x5040100
	;; [unrolled: 1-line block ×7, first 2 shown]
	ds_store_b128 v33, v[19:22]
	ds_store_b128 v33, v[0:3] offset:16
	ds_store_b128 v33, v[4:7] offset:32
	;; [unrolled: 1-line block ×3, first 2 shown]
.LBB0_7:
	s_wait_alu 0xfffe
	s_or_b32 exec_lo, exec_lo, s6
	v_mul_u32_u24_e32 v0, 6, v26
	s_load_b128 s[20:23], s[2:3], 0x0
	global_wb scope:SCOPE_SE
	s_wait_dscnt 0x0
	s_wait_kmcnt 0x0
	s_barrier_signal -1
	s_barrier_wait -1
	v_lshlrev_b32_e32 v5, 2, v0
	global_inv scope:SCOPE_SE
	v_lshlrev_b32_e32 v7, 2, v17
	v_lshl_add_u32 v25, v26, 2, v18
	s_clause 0x1
	global_load_b128 v[0:3], v5, s[0:1]
	global_load_b64 v[5:6], v5, s[0:1] offset:16
	ds_load_2addr_b32 v[19:20], v7 offset1:16
	ds_load_2addr_b32 v[21:22], v7 offset0:32 offset1:48
	ds_load_2addr_b32 v[43:44], v7 offset0:64 offset1:80
	ds_load_b32 v17, v7 offset:384
	s_wait_dscnt 0x3
	v_lshrrev_b32_e32 v45, 16, v20
	s_wait_dscnt 0x2
	v_lshrrev_b32_e32 v46, 16, v21
	;; [unrolled: 2-line block ×4, first 2 shown]
	v_lshrrev_b32_e32 v47, 16, v22
	v_lshrrev_b32_e32 v48, 16, v43
	;; [unrolled: 1-line block ×3, first 2 shown]
	s_wait_loadcnt 0x1
	v_lshrrev_b32_e32 v34, 16, v0
	v_lshrrev_b32_e32 v33, 16, v1
	s_wait_loadcnt 0x0
	v_lshrrev_b32_e32 v29, 16, v5
	v_lshrrev_b32_e32 v32, 16, v6
	;; [unrolled: 1-line block ×4, first 2 shown]
	v_mul_f16_e32 v51, v45, v34
	v_mul_f16_e32 v52, v20, v34
	;; [unrolled: 1-line block ×12, first 2 shown]
	v_fma_f16 v20, v20, v0, -v51
	v_fmac_f16_e32 v52, v45, v0
	v_fma_f16 v21, v21, v1, -v53
	v_fmac_f16_e32 v54, v46, v1
	;; [unrolled: 2-line block ×6, first 2 shown]
	v_add_f16_e32 v45, v20, v17
	v_add_f16_e32 v46, v52, v62
	;; [unrolled: 1-line block ×4, first 2 shown]
	v_sub_f16_e32 v17, v20, v17
	v_sub_f16_e32 v20, v52, v62
	;; [unrolled: 1-line block ×4, first 2 shown]
	v_add_f16_e32 v49, v22, v43
	v_add_f16_e32 v50, v56, v58
	v_sub_f16_e32 v22, v43, v22
	v_sub_f16_e32 v43, v58, v56
	v_add_f16_e32 v51, v47, v45
	v_add_f16_e32 v52, v48, v46
	v_sub_f16_e32 v53, v47, v45
	v_sub_f16_e32 v54, v48, v46
	;; [unrolled: 1-line block ×6, first 2 shown]
	v_add_f16_e32 v55, v22, v21
	v_add_f16_e32 v56, v43, v44
	v_sub_f16_e32 v57, v22, v21
	v_sub_f16_e32 v58, v43, v44
	;; [unrolled: 1-line block ×4, first 2 shown]
	v_add_f16_e32 v49, v49, v51
	v_add_f16_e32 v50, v50, v52
	v_sub_f16_e32 v22, v17, v22
	v_sub_f16_e32 v59, v20, v43
	v_add_f16_e32 v17, v55, v17
	v_add_f16_e32 v20, v56, v20
	v_mul_f16_e32 v45, 0x3a52, v45
	v_mul_f16_e32 v46, 0x3a52, v46
	;; [unrolled: 1-line block ×8, first 2 shown]
	v_add_f16_e32 v43, v19, v49
	v_add_f16_e32 v44, v18, v50
	v_fmamk_f16 v18, v47, 0x2b26, v45
	v_fmamk_f16 v19, v48, 0x2b26, v46
	v_fma_f16 v47, v53, 0x39e0, -v51
	v_fma_f16 v48, v54, 0x39e0, -v52
	;; [unrolled: 1-line block ×4, first 2 shown]
	v_fmamk_f16 v51, v22, 0x3574, v55
	v_fmamk_f16 v52, v59, 0x3574, v56
	v_fma_f16 v53, v21, 0x3b00, -v55
	v_fma_f16 v54, v60, 0x3b00, -v56
	;; [unrolled: 1-line block ×4, first 2 shown]
	v_fmamk_f16 v21, v49, 0xbcab, v43
	v_fmamk_f16 v22, v50, 0xbcab, v44
	v_fmac_f16_e32 v51, 0x370e, v17
	v_fmac_f16_e32 v52, 0x370e, v20
	;; [unrolled: 1-line block ×5, first 2 shown]
	v_add_f16_e32 v20, v18, v21
	v_add_f16_e32 v50, v19, v22
	;; [unrolled: 1-line block ×5, first 2 shown]
	v_fmac_f16_e32 v53, 0x370e, v17
	v_add_f16_e32 v45, v48, v22
	v_add_f16_e32 v17, v52, v20
	v_sub_f16_e32 v48, v50, v51
	v_add_f16_e32 v18, v56, v47
	v_sub_f16_e32 v49, v58, v55
	v_sub_f16_e32 v21, v19, v54
	v_add_f16_e32 v46, v53, v45
	v_add_f16_e32 v22, v54, v19
	v_sub_f16_e32 v45, v45, v53
	v_sub_f16_e32 v19, v47, v56
	v_add_f16_e32 v47, v55, v58
	v_sub_f16_e32 v20, v20, v52
	v_add_f16_e32 v50, v51, v50
	v_pack_b32_f16 v57, v43, v44
	v_pack_b32_f16 v51, v17, v48
	;; [unrolled: 1-line block ×7, first 2 shown]
	ds_store_b32 v7, v57
	ds_store_2addr_b32 v25, v51, v52 offset0:16 offset1:32
	ds_store_2addr_b32 v25, v53, v54 offset0:48 offset1:64
	;; [unrolled: 1-line block ×3, first 2 shown]
	global_wb scope:SCOPE_SE
	s_wait_dscnt 0x0
	s_barrier_signal -1
	s_barrier_wait -1
	global_inv scope:SCOPE_SE
	s_and_saveexec_b32 s2, vcc_lo
	s_cbranch_execz .LBB0_9
; %bb.8:
	global_load_b32 v51, v23, s[24:25] offset:448
	s_add_nc_u64 s[0:1], s[24:25], 0x1c0
	s_clause 0xe
	global_load_b32 v65, v23, s[0:1] offset:28
	global_load_b32 v66, v23, s[0:1] offset:56
	;; [unrolled: 1-line block ×15, first 2 shown]
	ds_load_b32 v52, v7
	s_wait_dscnt 0x0
	v_lshrrev_b32_e32 v53, 16, v52
	s_wait_loadcnt 0xe
	v_lshrrev_b32_e32 v80, 16, v65
	s_wait_loadcnt 0xd
	v_lshrrev_b32_e32 v81, 16, v66
	s_wait_loadcnt 0xc
	v_lshrrev_b32_e32 v82, 16, v67
	s_wait_loadcnt 0xb
	v_lshrrev_b32_e32 v83, 16, v68
	s_wait_loadcnt 0xa
	v_lshrrev_b32_e32 v84, 16, v69
	s_wait_loadcnt 0x9
	v_lshrrev_b32_e32 v85, 16, v70
	s_wait_loadcnt 0x8
	v_lshrrev_b32_e32 v86, 16, v71
	s_wait_loadcnt 0x7
	v_lshrrev_b32_e32 v87, 16, v72
	s_wait_loadcnt 0x6
	v_lshrrev_b32_e32 v88, 16, v73
	s_wait_loadcnt 0x5
	v_lshrrev_b32_e32 v89, 16, v74
	s_wait_loadcnt 0x4
	v_lshrrev_b32_e32 v90, 16, v75
	v_lshrrev_b32_e32 v54, 16, v51
	s_wait_loadcnt 0x3
	v_lshrrev_b32_e32 v91, 16, v76
	s_wait_loadcnt 0x2
	;; [unrolled: 2-line block ×4, first 2 shown]
	v_lshrrev_b32_e32 v94, 16, v79
	v_mul_f16_e32 v55, v53, v54
	v_mul_f16_e32 v54, v52, v54
	s_delay_alu instid0(VALU_DEP_2) | instskip(NEXT) | instid1(VALU_DEP_2)
	v_fma_f16 v52, v52, v51, -v55
	v_fmac_f16_e32 v54, v53, v51
	s_delay_alu instid0(VALU_DEP_1)
	v_pack_b32_f16 v51, v52, v54
	ds_store_b32 v7, v51
	ds_load_2addr_b32 v[51:52], v25 offset0:7 offset1:14
	ds_load_2addr_b32 v[53:54], v25 offset0:21 offset1:28
	;; [unrolled: 1-line block ×7, first 2 shown]
	ds_load_b32 v95, v25 offset:420
	s_wait_dscnt 0x7
	v_lshrrev_b32_e32 v96, 16, v51
	v_lshrrev_b32_e32 v98, 16, v52
	s_wait_dscnt 0x6
	v_lshrrev_b32_e32 v100, 16, v53
	v_lshrrev_b32_e32 v102, 16, v54
	;; [unrolled: 3-line block ×5, first 2 shown]
	v_mul_f16_e32 v97, v51, v80
	v_mul_f16_e32 v99, v52, v81
	s_wait_dscnt 0x2
	v_lshrrev_b32_e32 v116, 16, v61
	v_lshrrev_b32_e32 v118, 16, v62
	s_wait_dscnt 0x1
	v_lshrrev_b32_e32 v120, 16, v63
	v_lshrrev_b32_e32 v122, 16, v64
	s_wait_dscnt 0x0
	v_lshrrev_b32_e32 v124, 16, v95
	v_mul_f16_e32 v80, v96, v80
	v_mul_f16_e32 v81, v98, v81
	v_mul_f16_e32 v101, v53, v82
	v_mul_f16_e32 v103, v54, v83
	v_mul_f16_e32 v82, v100, v82
	v_mul_f16_e32 v83, v102, v83
	v_mul_f16_e32 v105, v55, v84
	v_mul_f16_e32 v107, v56, v85
	v_mul_f16_e32 v84, v104, v84
	v_mul_f16_e32 v85, v106, v85
	v_mul_f16_e32 v109, v57, v86
	v_mul_f16_e32 v111, v58, v87
	v_mul_f16_e32 v86, v108, v86
	v_mul_f16_e32 v87, v110, v87
	v_mul_f16_e32 v113, v59, v88
	v_mul_f16_e32 v115, v60, v89
	v_mul_f16_e32 v88, v112, v88
	v_mul_f16_e32 v89, v114, v89
	v_mul_f16_e32 v117, v61, v90
	v_mul_f16_e32 v119, v62, v91
	v_mul_f16_e32 v121, v63, v92
	v_mul_f16_e32 v123, v64, v93
	v_mul_f16_e32 v125, v95, v94
	v_fmac_f16_e32 v97, v96, v65
	v_fmac_f16_e32 v99, v98, v66
	v_mul_f16_e32 v90, v116, v90
	v_mul_f16_e32 v91, v118, v91
	;; [unrolled: 1-line block ×5, first 2 shown]
	v_fma_f16 v51, v51, v65, -v80
	v_fma_f16 v52, v52, v66, -v81
	v_fmac_f16_e32 v101, v100, v67
	v_fmac_f16_e32 v103, v102, v68
	v_fma_f16 v53, v53, v67, -v82
	v_fma_f16 v54, v54, v68, -v83
	v_fmac_f16_e32 v105, v104, v69
	v_fmac_f16_e32 v107, v106, v70
	;; [unrolled: 4-line block ×5, first 2 shown]
	v_fmac_f16_e32 v121, v120, v77
	v_fmac_f16_e32 v123, v122, v78
	v_fmac_f16_e32 v125, v124, v79
	v_fma_f16 v61, v61, v75, -v90
	v_fma_f16 v62, v62, v76, -v91
	;; [unrolled: 1-line block ×5, first 2 shown]
	v_pack_b32_f16 v51, v51, v97
	v_pack_b32_f16 v52, v52, v99
	;; [unrolled: 1-line block ×15, first 2 shown]
	ds_store_2addr_b32 v25, v51, v52 offset0:7 offset1:14
	ds_store_2addr_b32 v25, v53, v54 offset0:21 offset1:28
	;; [unrolled: 1-line block ×7, first 2 shown]
	ds_store_b32 v25, v65 offset:420
.LBB0_9:
	s_wait_alu 0xfffe
	s_or_b32 exec_lo, exec_lo, s2
	v_lshrrev_b32_e32 v51, 16, v10
	global_wb scope:SCOPE_SE
	s_wait_dscnt 0x0
	s_barrier_signal -1
	s_barrier_wait -1
	global_inv scope:SCOPE_SE
	s_and_saveexec_b32 s0, vcc_lo
	s_cbranch_execz .LBB0_11
; %bb.10:
	ds_load_b32 v43, v7
	ds_load_2addr_b32 v[17:18], v25 offset0:7 offset1:14
	ds_load_2addr_b32 v[21:22], v25 offset0:21 offset1:28
	;; [unrolled: 1-line block ×7, first 2 shown]
	ds_load_b32 v37, v25 offset:420
	s_wait_dscnt 0x8
	v_lshrrev_b32_e32 v44, 16, v43
	s_wait_dscnt 0x7
	v_lshrrev_b32_e32 v48, 16, v17
	v_lshrrev_b32_e32 v49, 16, v18
	s_wait_dscnt 0x6
	v_lshrrev_b32_e32 v46, 16, v21
	;; [unrolled: 3-line block ×4, first 2 shown]
	s_wait_dscnt 0x3
	v_lshrrev_b32_e32 v36, 16, v11
	v_lshrrev_b32_e32 v39, 16, v12
	s_wait_dscnt 0x2
	v_lshrrev_b32_e32 v38, 16, v13
	v_lshrrev_b32_e32 v51, 16, v14
	;; [unrolled: 3-line block ×3, first 2 shown]
	s_wait_dscnt 0x0
	v_lshrrev_b32_e32 v41, 16, v37
	v_mov_b32_e32 v4, v10
.LBB0_11:
	s_wait_alu 0xfffe
	s_or_b32 exec_lo, exec_lo, s0
	global_wb scope:SCOPE_SE
	s_barrier_signal -1
	s_barrier_wait -1
	global_inv scope:SCOPE_SE
	s_and_saveexec_b32 s0, vcc_lo
	s_cbranch_execz .LBB0_13
; %bb.12:
	v_sub_f16_e32 v10, v50, v42
	v_sub_f16_e32 v42, v45, v51
	;; [unrolled: 1-line block ×3, first 2 shown]
	v_lshrrev_b32_e32 v4, 16, v4
	v_sub_f16_e32 v39, v49, v39
	v_sub_f16_e32 v16, v20, v16
	;; [unrolled: 1-line block ×17, first 2 shown]
	v_add_f16_e32 v52, v10, v12
	v_add_f16_e32 v53, v42, v51
	;; [unrolled: 1-line block ×4, first 2 shown]
	v_fmamk_f16 v61, v58, 0x39a8, v59
	v_fma_f16 v49, v49, 2.0, -v39
	v_fma_f16 v10, v50, 2.0, -v10
	;; [unrolled: 1-line block ×4, first 2 shown]
	v_fmamk_f16 v22, v56, 0x39a8, v63
	v_fma_f16 v46, v46, 2.0, -v38
	v_fma_f16 v35, v35, 2.0, -v41
	;; [unrolled: 1-line block ×4, first 2 shown]
	v_fmamk_f16 v57, v52, 0x39a8, v53
	v_fmamk_f16 v60, v54, 0x39a8, v55
	v_fmac_f16_e32 v61, 0xb9a8, v54
	v_sub_f16_e32 v10, v49, v10
	v_sub_f16_e32 v14, v43, v14
	v_fma_f16 v48, v48, 2.0, -v36
	v_fma_f16 v19, v47, 2.0, -v40
	;; [unrolled: 1-line block ×4, first 2 shown]
	v_sub_f16_e32 v35, v46, v35
	v_sub_f16_e32 v15, v17, v15
	v_fmac_f16_e32 v22, 0xb9a8, v52
	v_fma_f16 v41, v44, 2.0, -v4
	v_fma_f16 v42, v45, 2.0, -v42
	v_fma_f16 v18, v18, 2.0, -v12
	v_fma_f16 v16, v20, 2.0, -v16
	v_fma_f16 v20, v39, 2.0, -v56
	v_fma_f16 v4, v4, 2.0, -v63
	v_fmac_f16_e32 v57, 0x39a8, v56
	v_fmac_f16_e32 v60, 0x39a8, v58
	v_add_f16_e32 v37, v10, v14
	v_sub_f16_e32 v19, v48, v19
	v_sub_f16_e32 v9, v21, v9
	v_add_f16_e32 v40, v35, v15
	v_fmamk_f16 v45, v61, 0x3b64, v22
	v_sub_f16_e32 v42, v41, v42
	v_fma_f16 v39, v51, 2.0, -v53
	v_fma_f16 v12, v12, 2.0, -v52
	;; [unrolled: 1-line block ×6, first 2 shown]
	v_sub_f16_e32 v16, v18, v16
	v_fmamk_f16 v56, v20, 0xb9a8, v4
	v_sub_f16_e32 v47, v19, v9
	v_fmamk_f16 v50, v40, 0x39a8, v37
	v_fmamk_f16 v51, v12, 0xb9a8, v39
	;; [unrolled: 1-line block ×4, first 2 shown]
	v_sub_f16_e32 v58, v42, v16
	v_fmac_f16_e32 v56, 0xb9a8, v12
	v_fmac_f16_e32 v45, 0xb61f, v60
	v_fma_f16 v12, v43, 2.0, -v14
	v_fma_f16 v16, v18, 2.0, -v16
	v_fma_f16 v18, v48, 2.0, -v19
	v_fma_f16 v35, v46, 2.0, -v35
	v_fma_f16 v41, v41, 2.0, -v42
	v_fma_f16 v10, v49, 2.0, -v10
	v_fma_f16 v17, v17, 2.0, -v15
	v_fma_f16 v9, v21, 2.0, -v9
	v_fmamk_f16 v62, v60, 0x3b64, v57
	v_fmac_f16_e32 v51, 0x39a8, v20
	v_fmac_f16_e32 v52, 0xb9a8, v13
	v_fmac_f16_e32 v54, 0x39a8, v38
	v_fmac_f16_e32 v50, 0x39a8, v47
	v_fmamk_f16 v64, v47, 0x39a8, v58
	v_fma_f16 v13, v22, 2.0, -v45
	v_sub_f16_e32 v16, v12, v16
	v_sub_f16_e32 v35, v18, v35
	v_fma_f16 v21, v53, 2.0, -v57
	v_fma_f16 v48, v55, 2.0, -v60
	v_sub_f16_e32 v10, v41, v10
	v_sub_f16_e32 v9, v17, v9
	v_fma_f16 v53, v59, 2.0, -v61
	v_fma_f16 v22, v63, 2.0, -v22
	;; [unrolled: 1-line block ×4, first 2 shown]
	v_fmac_f16_e32 v62, 0x361f, v61
	v_fma_f16 v20, v37, 2.0, -v50
	v_fmac_f16_e32 v64, 0xb9a8, v40
	v_add_f16_e32 v49, v35, v16
	v_fmamk_f16 v55, v48, 0xb61f, v21
	v_sub_f16_e32 v40, v10, v9
	v_fmamk_f16 v37, v53, 0xb61f, v22
	v_fma_f16 v19, v19, 2.0, -v47
	v_fmamk_f16 v47, v15, 0xb9a8, v14
	v_fma_f16 v42, v42, 2.0, -v58
	v_fma_f16 v39, v39, 2.0, -v51
	;; [unrolled: 1-line block ×6, first 2 shown]
	v_fmac_f16_e32 v55, 0x3b64, v53
	v_fma_f16 v53, v16, 2.0, -v49
	v_fma_f16 v57, v10, 2.0, -v40
	v_fmac_f16_e32 v37, 0xbb64, v48
	v_fmac_f16_e32 v47, 0x39a8, v19
	v_fmamk_f16 v19, v19, 0xb9a8, v42
	v_fmamk_f16 v48, v11, 0xbb64, v39
	v_fma_f16 v12, v12, 2.0, -v16
	v_fma_f16 v9, v17, 2.0, -v9
	v_fma_f16 v10, v41, 2.0, -v10
	v_fma_f16 v16, v18, 2.0, -v35
	v_fmamk_f16 v18, v36, 0xbb64, v4
	v_fmamk_f16 v65, v54, 0x361f, v51
	;; [unrolled: 1-line block ×3, first 2 shown]
	v_fmac_f16_e32 v19, 0xb9a8, v15
	v_fmac_f16_e32 v48, 0x361f, v36
	v_sub_f16_e32 v17, v12, v9
	v_sub_f16_e32 v35, v10, v16
	v_fmac_f16_e32 v18, 0xb61f, v11
	v_fmac_f16_e32 v65, 0x3b64, v52
	;; [unrolled: 1-line block ×3, first 2 shown]
	v_fma_f16 v21, v21, 2.0, -v55
	v_fma_f16 v22, v22, 2.0, -v37
	;; [unrolled: 1-line block ×11, first 2 shown]
	v_add_lshl_u32 v27, v27, v28, 2
	v_pack_b32_f16 v12, v21, v22
	v_pack_b32_f16 v11, v14, v9
	v_pack_b32_f16 v9, v16, v10
	v_pack_b32_f16 v10, v15, v4
	v_pack_b32_f16 v16, v44, v13
	v_pack_b32_f16 v15, v20, v38
	v_pack_b32_f16 v13, v53, v57
	v_pack_b32_f16 v14, v43, v46
	v_pack_b32_f16 v20, v55, v37
	v_pack_b32_f16 v19, v47, v19
	v_pack_b32_f16 v17, v17, v35
	v_pack_b32_f16 v18, v48, v18
	v_pack_b32_f16 v38, v62, v45
	v_pack_b32_f16 v37, v50, v64
	v_pack_b32_f16 v35, v49, v40
	v_pack_b32_f16 v36, v65, v66
	ds_store_b128 v27, v[9:12]
	ds_store_b128 v27, v[13:16] offset:16
	ds_store_b128 v27, v[17:20] offset:32
	;; [unrolled: 1-line block ×3, first 2 shown]
.LBB0_13:
	s_wait_alu 0xfffe
	s_or_b32 exec_lo, exec_lo, s0
	global_wb scope:SCOPE_SE
	s_wait_dscnt 0x0
	s_barrier_signal -1
	s_barrier_wait -1
	global_inv scope:SCOPE_SE
	ds_load_2addr_b32 v[9:10], v7 offset1:16
	ds_load_2addr_b32 v[11:12], v7 offset0:32 offset1:48
	ds_load_2addr_b32 v[13:14], v7 offset0:64 offset1:80
	ds_load_b32 v4, v7 offset:384
	s_wait_dscnt 0x3
	v_lshrrev_b32_e32 v16, 16, v10
	s_wait_dscnt 0x2
	v_lshrrev_b32_e32 v17, 16, v11
	v_lshrrev_b32_e32 v18, 16, v12
	v_mul_f16_e32 v22, v34, v10
	v_mul_f16_e32 v27, v33, v11
	s_wait_dscnt 0x1
	v_lshrrev_b32_e32 v20, 16, v14
	s_wait_dscnt 0x0
	v_lshrrev_b32_e32 v21, 16, v4
	v_mul_f16_e32 v28, v31, v12
	v_mul_f16_e32 v34, v34, v16
	v_fma_f16 v16, v0, v16, -v22
	v_mul_f16_e32 v22, v33, v17
	v_fma_f16 v17, v1, v17, -v27
	v_mul_f16_e32 v27, v31, v18
	v_lshrrev_b32_e32 v19, 16, v13
	v_mul_f16_e32 v35, v32, v4
	v_fma_f16 v18, v2, v18, -v28
	v_mul_f16_e32 v31, v32, v21
	v_fmac_f16_e32 v22, v1, v11
	v_fmac_f16_e32 v27, v2, v12
	v_mul_f16_e32 v1, v29, v20
	v_mul_f16_e32 v2, v29, v14
	;; [unrolled: 1-line block ×3, first 2 shown]
	v_fmac_f16_e32 v34, v0, v10
	v_mul_f16_e32 v0, v30, v13
	v_fmac_f16_e32 v31, v6, v4
	v_fma_f16 v4, v6, v21, -v35
	v_fmac_f16_e32 v1, v5, v14
	v_fma_f16 v2, v5, v20, -v2
	;; [unrolled: 2-line block ×3, first 2 shown]
	v_add_f16_e32 v3, v34, v31
	v_add_f16_e32 v5, v16, v4
	;; [unrolled: 1-line block ×4, first 2 shown]
	v_sub_f16_e32 v6, v34, v31
	v_sub_f16_e32 v4, v16, v4
	;; [unrolled: 1-line block ×4, first 2 shown]
	v_add_f16_e32 v12, v27, v28
	v_add_f16_e32 v13, v18, v0
	v_sub_f16_e32 v14, v28, v27
	v_sub_f16_e32 v0, v0, v18
	v_add_f16_e32 v16, v10, v3
	v_add_f16_e32 v17, v11, v5
	v_lshrrev_b32_e32 v15, 16, v9
	v_sub_f16_e32 v18, v10, v3
	v_sub_f16_e32 v19, v11, v5
	;; [unrolled: 1-line block ×6, first 2 shown]
	v_add_f16_e32 v20, v14, v1
	v_add_f16_e32 v21, v0, v2
	v_sub_f16_e32 v22, v14, v1
	v_sub_f16_e32 v27, v0, v2
	;; [unrolled: 1-line block ×3, first 2 shown]
	v_add_f16_e32 v12, v12, v16
	v_add_f16_e32 v13, v13, v17
	v_sub_f16_e32 v2, v2, v4
	v_sub_f16_e32 v14, v6, v14
	;; [unrolled: 1-line block ×3, first 2 shown]
	v_add_f16_e32 v6, v20, v6
	v_add_f16_e32 v4, v21, v4
	v_add_f16_e32 v9, v9, v12
	v_add_f16_e32 v15, v15, v13
	v_mul_f16_e32 v3, 0x3a52, v3
	v_mul_f16_e32 v5, 0x3a52, v5
	;; [unrolled: 1-line block ×8, first 2 shown]
	v_fmamk_f16 v12, v12, 0xbcab, v9
	v_fmamk_f16 v13, v13, 0xbcab, v15
	;; [unrolled: 1-line block ×4, first 2 shown]
	v_fma_f16 v16, v18, 0x39e0, -v16
	v_fma_f16 v17, v19, 0x39e0, -v17
	;; [unrolled: 1-line block ×4, first 2 shown]
	v_fmamk_f16 v18, v14, 0xb574, v20
	v_fmamk_f16 v19, v0, 0xb574, v21
	v_fma_f16 v14, v14, 0x3574, -v22
	v_fma_f16 v0, v0, 0x3574, -v27
	v_fma_f16 v1, v1, 0xbb00, -v20
	v_fma_f16 v2, v2, 0xbb00, -v21
	v_add_f16_e32 v10, v10, v12
	v_add_f16_e32 v11, v11, v13
	;; [unrolled: 1-line block ×4, first 2 shown]
	v_fmac_f16_e32 v18, 0xb70e, v6
	v_fmac_f16_e32 v19, 0xb70e, v4
	;; [unrolled: 1-line block ×4, first 2 shown]
	v_add_f16_e32 v16, v16, v12
	v_add_f16_e32 v17, v17, v13
	v_fmac_f16_e32 v1, 0xb70e, v6
	v_fmac_f16_e32 v2, 0xb70e, v4
	v_add_f16_e32 v4, v19, v10
	v_sub_f16_e32 v6, v11, v18
	v_add_f16_e32 v12, v0, v3
	v_sub_f16_e32 v13, v5, v14
	v_sub_f16_e32 v20, v16, v2
	v_add_f16_e32 v21, v1, v17
	v_add_f16_e32 v2, v2, v16
	v_sub_f16_e32 v1, v17, v1
	v_sub_f16_e32 v0, v3, v0
	v_add_f16_e32 v3, v14, v5
	v_sub_f16_e32 v5, v10, v19
	v_add_f16_e32 v10, v18, v11
	v_pack_b32_f16 v9, v9, v15
	v_pack_b32_f16 v4, v4, v6
	;; [unrolled: 1-line block ×7, first 2 shown]
	ds_store_b32 v7, v9
	ds_store_2addr_b32 v25, v4, v6 offset0:16 offset1:32
	ds_store_2addr_b32 v25, v11, v1 offset0:48 offset1:64
	;; [unrolled: 1-line block ×3, first 2 shown]
	global_wb scope:SCOPE_SE
	s_wait_dscnt 0x0
	s_barrier_signal -1
	s_barrier_wait -1
	global_inv scope:SCOPE_SE
	s_and_b32 exec_lo, exec_lo, vcc_lo
	s_cbranch_execz .LBB0_15
; %bb.14:
	s_clause 0x6
	global_load_b32 v11, v23, s[24:25]
	global_load_b32 v13, v23, s[24:25] offset:28
	global_load_b32 v18, v23, s[24:25] offset:56
	global_load_b32 v19, v23, s[24:25] offset:84
	global_load_b32 v20, v23, s[24:25] offset:112
	global_load_b32 v21, v23, s[24:25] offset:140
	global_load_b32 v22, v23, s[24:25] offset:168
	ds_load_b32 v27, v7
	ds_load_2addr_b32 v[9:10], v25 offset0:7 offset1:14
	ds_load_2addr_b32 v[6:7], v25 offset0:21 offset1:28
	v_mad_co_u64_u32 v[2:3], null, s22, v8, 0
	v_mad_co_u64_u32 v[4:5], null, s20, v26, 0
	s_mov_b32 s28, 0x92492492
	ds_load_2addr_b32 v[0:1], v25 offset0:35 offset1:42
	s_mov_b32 s29, 0x3f824924
	s_mul_u64 s[26:27], s[20:21], 28
	s_clause 0x3
	global_load_b32 v15, v23, s[24:25] offset:196
	global_load_b32 v16, v23, s[24:25] offset:224
	;; [unrolled: 1-line block ×4, first 2 shown]
	ds_load_b32 v12, v25 offset:420
	v_mad_co_u64_u32 v[28:29], null, s23, v8, v[3:4]
	s_wait_dscnt 0x4
	v_lshrrev_b32_e32 v3, 16, v27
	s_wait_dscnt 0x2
	v_mad_co_u64_u32 v[29:30], null, s21, v26, v[5:6]
	v_lshrrev_b32_e32 v5, 16, v9
	v_lshrrev_b32_e32 v30, 16, v10
	;; [unrolled: 1-line block ×4, first 2 shown]
	s_wait_dscnt 0x1
	v_lshrrev_b32_e32 v36, 16, v0
	s_wait_loadcnt 0xa
	v_lshrrev_b32_e32 v8, 16, v11
	s_wait_loadcnt 0x9
	;; [unrolled: 2-line block ×5, first 2 shown]
	v_lshrrev_b32_e32 v37, 16, v20
	v_mul_f16_e32 v33, v3, v8
	v_mul_f16_e32 v8, v27, v8
	;; [unrolled: 1-line block ×5, first 2 shown]
	v_fmac_f16_e32 v33, v27, v11
	v_fma_f16 v3, v11, v3, -v8
	v_fmac_f16_e32 v39, v9, v13
	v_mul_f16_e32 v31, v10, v31
	v_fma_f16 v5, v13, v5, -v26
	v_fmac_f16_e32 v40, v10, v18
	v_cvt_f32_f16_e32 v3, v3
	v_cvt_f32_f16_e32 v27, v39
	;; [unrolled: 1-line block ×3, first 2 shown]
	v_mul_f16_e32 v41, v34, v32
	v_mul_f16_e32 v13, v6, v32
	v_cvt_f64_f32_e32 v[10:11], v3
	v_cvt_f64_f32_e32 v[26:27], v27
	;; [unrolled: 1-line block ×3, first 2 shown]
	v_cvt_f32_f16_e32 v3, v5
	v_fma_f16 v18, v18, v30, -v31
	v_cvt_f32_f16_e32 v32, v40
	v_fmac_f16_e32 v41, v6, v19
	s_wait_loadcnt 0x5
	v_lshrrev_b32_e32 v38, 16, v21
	v_cvt_f64_f32_e32 v[30:31], v3
	v_cvt_f32_f16_e32 v6, v18
	v_cvt_f64_f32_e32 v[32:33], v32
	v_mul_f16_e32 v5, v35, v37
	v_fma_f16 v13, v19, v34, -v13
	v_cvt_f32_f16_e32 v34, v41
	v_cvt_f64_f32_e32 v[18:19], v6
	v_mul_f16_e32 v37, v7, v37
	v_mul_f16_e32 v3, v36, v38
	;; [unrolled: 1-line block ×3, first 2 shown]
	v_fmac_f16_e32 v5, v7, v20
	v_cvt_f32_f16_e32 v13, v13
	v_cvt_f64_f32_e32 v[6:7], v34
	v_fma_f16 v35, v20, v35, -v37
	v_fmac_f16_e32 v3, v0, v21
	v_fma_f16 v0, v21, v36, -v38
	v_cvt_f32_f16_e32 v5, v5
	v_cvt_f64_f32_e32 v[20:21], v13
	v_cvt_f32_f16_e32 v36, v35
	v_cvt_f32_f16_e32 v37, v3
	;; [unrolled: 1-line block ×3, first 2 shown]
	v_cvt_f64_f32_e32 v[34:35], v5
	v_lshrrev_b32_e32 v13, 16, v1
	s_wait_loadcnt 0x4
	v_lshrrev_b32_e32 v40, 16, v22
	v_cvt_f64_f32_e32 v[38:39], v0
	s_delay_alu instid0(VALU_DEP_2)
	v_mul_f16_e32 v42, v13, v40
	v_mul_f16_e32 v43, v1, v40
	v_mul_f64_e32 v[10:11], s[28:29], v[10:11]
	v_mul_f64_e32 v[26:27], s[28:29], v[26:27]
	;; [unrolled: 1-line block ×3, first 2 shown]
	v_fmac_f16_e32 v42, v1, v22
	v_fma_f16 v1, v22, v13, -v43
	v_mul_f64_e32 v[30:31], s[28:29], v[30:31]
	s_delay_alu instid0(VALU_DEP_2)
	v_cvt_f32_f16_e32 v1, v1
	v_mul_f64_e32 v[32:33], s[28:29], v[32:33]
	v_mul_f64_e32 v[18:19], s[28:29], v[18:19]
	;; [unrolled: 1-line block ×5, first 2 shown]
	v_bfe_u32 v46, v11, 20, 11
	v_mov_b32_e32 v3, v28
	v_bfe_u32 v48, v27, 20, 11
	v_mov_b32_e32 v5, v29
	v_cvt_f64_f32_e32 v[28:29], v36
	v_cvt_f64_f32_e32 v[36:37], v37
	v_sub_nc_u32_e32 v67, 0x3f1, v46
	v_add_nc_u32_e32 v46, 0xfffffc10, v46
	v_lshlrev_b64_e32 v[2:3], 2, v[2:3]
	v_sub_nc_u32_e32 v68, 0x3f1, v48
	v_add_nc_u32_e32 v48, 0xfffffc10, v48
	v_lshlrev_b64_e32 v[4:5], 2, v[4:5]
	v_and_or_b32 v10, 0x1ff, v11, v10
	v_and_or_b32 v26, 0x1ff, v27, v26
	v_add_co_u32 v0, vcc_lo, s4, v2
	v_add_co_ci_u32_e32 v2, vcc_lo, s5, v3, vcc_lo
	v_and_or_b32 v30, 0x1ff, v31, v30
	s_delay_alu instid0(VALU_DEP_3) | instskip(SKIP_1) | instid1(VALU_DEP_3)
	v_add_co_u32 v3, vcc_lo, v0, v4
	s_wait_alu 0xfffd
	v_add_co_ci_u32_e32 v4, vcc_lo, v2, v5, vcc_lo
	v_mul_f64_e32 v[5:6], s[28:29], v[6:7]
	v_cvt_f32_f16_e32 v7, v42
	v_add_co_u32 v40, vcc_lo, v3, s26
	s_wait_alu 0xfffd
	v_add_co_ci_u32_e32 v41, vcc_lo, s27, v4, vcc_lo
	s_delay_alu instid0(VALU_DEP_3) | instskip(SKIP_4) | instid1(VALU_DEP_3)
	v_cvt_f64_f32_e32 v[44:45], v7
	v_and_or_b32 v7, 0x1ff, v9, v8
	v_add_co_u32 v42, vcc_lo, v40, s26
	s_wait_alu 0xfffd
	v_add_co_ci_u32_e32 v43, vcc_lo, s27, v41, vcc_lo
	v_cmp_ne_u32_e32 vcc_lo, 0, v7
	v_and_or_b32 v32, 0x1ff, v33, v32
	v_and_or_b32 v18, 0x1ff, v19, v18
	v_and_or_b32 v20, 0x1ff, v21, v20
	v_and_or_b32 v34, 0x1ff, v35, v34
	s_wait_alu 0xfffd
	v_cndmask_b32_e64 v7, 0, 1, vcc_lo
	v_cmp_ne_u32_e32 vcc_lo, 0, v10
	v_mul_f64_e32 v[28:29], s[28:29], v[28:29]
	v_mul_f64_e32 v[36:37], s[28:29], v[36:37]
	v_lshrrev_b32_e32 v8, 8, v9
	v_and_or_b32 v38, 0x1ff, v39, v38
	s_wait_alu 0xfffd
	v_cndmask_b32_e64 v10, 0, 1, vcc_lo
	v_cmp_ne_u32_e32 vcc_lo, 0, v26
	v_bfe_u32 v13, v9, 20, 11
	v_lshrrev_b32_e32 v22, 8, v11
	v_and_or_b32 v7, 0xffe, v8, v7
	v_lshrrev_b32_e32 v47, 8, v27
	s_wait_alu 0xfffd
	v_cndmask_b32_e64 v26, 0, 1, vcc_lo
	v_cmp_ne_u32_e32 vcc_lo, 0, v30
	v_bfe_u32 v50, v31, 20, 11
	v_sub_nc_u32_e32 v66, 0x3f1, v13
	v_add_nc_u32_e32 v13, 0xfffffc10, v13
	v_and_or_b32 v10, 0xffe, v22, v10
	s_wait_alu 0xfffd
	v_cndmask_b32_e64 v30, 0, 1, vcc_lo
	v_cmp_ne_u32_e32 vcc_lo, 0, v32
	v_lshrrev_b32_e32 v49, 8, v31
	v_and_or_b32 v5, 0x1ff, v6, v5
	v_bfe_u32 v52, v33, 20, 11
	v_bfe_u32 v54, v19, 20, 11
	s_wait_alu 0xfffd
	v_cndmask_b32_e64 v32, 0, 1, vcc_lo
	v_cmp_ne_u32_e32 vcc_lo, 0, v18
	v_sub_nc_u32_e32 v69, 0x3f1, v50
	v_med3_i32 v8, v66, 0, 13
	v_med3_i32 v22, v67, 0, 13
	v_and_or_b32 v26, 0xffe, v47, v26
	s_wait_alu 0xfffd
	v_cndmask_b32_e64 v18, 0, 1, vcc_lo
	v_cmp_ne_u32_e32 vcc_lo, 0, v5
	v_or_b32_e32 v66, 0x1000, v7
	v_lshl_or_b32 v67, v13, 12, v7
	v_lshrrev_b32_e32 v51, 8, v33
	v_lshrrev_b32_e32 v53, 8, v19
	s_wait_alu 0xfffd
	v_cndmask_b32_e64 v5, 0, 1, vcc_lo
	v_cmp_ne_u32_e32 vcc_lo, 0, v20
	v_bfe_u32 v56, v6, 20, 11
	v_bfe_u32 v58, v21, 20, 11
	v_and_or_b32 v28, 0x1ff, v29, v28
	v_and_or_b32 v36, 0x1ff, v37, v36
	s_wait_alu 0xfffd
	v_cndmask_b32_e64 v20, 0, 1, vcc_lo
	v_cmp_ne_u32_e32 vcc_lo, 0, v34
	v_sub_nc_u32_e32 v70, 0x3f1, v52
	v_sub_nc_u32_e32 v71, 0x3f1, v54
	v_med3_i32 v47, v68, 0, 13
	v_and_or_b32 v30, 0xffe, v49, v30
	s_wait_alu 0xfffd
	v_cndmask_b32_e64 v34, 0, 1, vcc_lo
	v_cmp_ne_u32_e32 vcc_lo, 0, v28
	v_med3_i32 v49, v69, 0, 13
	v_or_b32_e32 v68, 0x1000, v10
	v_lshl_or_b32 v69, v46, 12, v10
	v_lshrrev_b32_e32 v55, 8, v6
	s_wait_alu 0xfffd
	v_cndmask_b32_e64 v28, 0, 1, vcc_lo
	v_cmp_ne_u32_e32 vcc_lo, 0, v36
	v_lshrrev_b32_e32 v57, 8, v21
	v_bfe_u32 v60, v35, 20, 11
	v_bfe_u32 v62, v29, 20, 11
	v_sub_nc_u32_e32 v72, 0x3f1, v56
	s_wait_alu 0xfffd
	v_cndmask_b32_e64 v36, 0, 1, vcc_lo
	v_cmp_ne_u32_e32 vcc_lo, 0, v38
	v_sub_nc_u32_e32 v73, 0x3f1, v58
	v_and_or_b32 v32, 0xffe, v51, v32
	v_med3_i32 v51, v70, 0, 13
	v_and_or_b32 v18, 0xffe, v53, v18
	s_wait_alu 0xfffd
	v_cndmask_b32_e64 v38, 0, 1, vcc_lo
	v_cmp_ne_u32_e32 vcc_lo, 0, v7
	v_med3_i32 v53, v71, 0, 13
	v_or_b32_e32 v70, 0x1000, v26
	v_lshl_or_b32 v71, v48, 12, v26
	v_add_nc_u32_e32 v50, 0xfffffc10, v50
	s_wait_alu 0xfffd
	v_cndmask_b32_e64 v7, 0, 1, vcc_lo
	v_cmp_ne_u32_e32 vcc_lo, 0, v10
	v_lshrrev_b32_e32 v59, 8, v35
	v_lshrrev_b32_e32 v61, 8, v29
	v_bfe_u32 v64, v37, 20, 11
	v_sub_nc_u32_e32 v74, 0x3f1, v60
	s_wait_alu 0xfffd
	v_cndmask_b32_e64 v10, 0, 1, vcc_lo
	v_cmp_ne_u32_e32 vcc_lo, 0, v26
	v_sub_nc_u32_e32 v75, 0x3f1, v62
	v_and_or_b32 v5, 0xffe, v55, v5
	v_med3_i32 v55, v72, 0, 13
	v_and_or_b32 v20, 0xffe, v57, v20
	s_wait_alu 0xfffd
	v_cndmask_b32_e64 v26, 0, 1, vcc_lo
	v_cmp_ne_u32_e32 vcc_lo, 0, v30
	v_med3_i32 v57, v73, 0, 13
	v_or_b32_e32 v72, 0x1000, v30
	v_lshl_or_b32 v73, v50, 12, v30
	v_add_nc_u32_e32 v52, 0xfffffc10, v52
	s_wait_alu 0xfffd
	v_cndmask_b32_e64 v30, 0, 1, vcc_lo
	v_cmp_ne_u32_e32 vcc_lo, 0, v32
	v_lshrrev_b32_e32 v63, 8, v37
	v_sub_nc_u32_e32 v76, 0x3f1, v64
	v_and_or_b32 v34, 0xffe, v59, v34
	v_med3_i32 v59, v74, 0, 13
	v_and_or_b32 v28, 0xffe, v61, v28
	v_med3_i32 v61, v75, 0, 13
	v_or_b32_e32 v74, 0x1000, v32
	v_lshl_or_b32 v75, v52, 12, v32
	v_add_nc_u32_e32 v54, 0xfffffc10, v54
	s_wait_alu 0xfffd
	v_cndmask_b32_e64 v32, 0, 1, vcc_lo
	v_cmp_ne_u32_e32 vcc_lo, 0, v18
	v_and_or_b32 v36, 0xffe, v63, v36
	v_med3_i32 v63, v76, 0, 13
	v_or_b32_e32 v76, 0x1000, v18
	v_lshl_or_b32 v77, v54, 12, v18
	v_add_nc_u32_e32 v56, 0xfffffc10, v56
	s_wait_alu 0xfffd
	v_cndmask_b32_e64 v18, 0, 1, vcc_lo
	v_cmp_ne_u32_e32 vcc_lo, 0, v5
	v_or_b32_e32 v78, 0x1000, v5
	v_or_b32_e32 v80, 0x1000, v20
	v_lshl_or_b32 v79, v56, 12, v5
	v_add_nc_u32_e32 v58, 0xfffffc10, v58
	s_wait_alu 0xfffd
	v_cndmask_b32_e64 v5, 0, 1, vcc_lo
	v_cmp_ne_u32_e32 vcc_lo, 0, v20
	v_lshrrev_b32_e32 v88, v8, v66
	v_or_b32_e32 v82, 0x1000, v34
	v_lshl_or_b32 v81, v58, 12, v20
	v_add_nc_u32_e32 v60, 0xfffffc10, v60
	s_wait_alu 0xfffd
	v_cndmask_b32_e64 v20, 0, 1, vcc_lo
	v_cmp_ne_u32_e32 vcc_lo, 0, v34
	v_lshrrev_b32_e32 v89, v22, v68
	v_lshlrev_b32_e32 v8, v8, v88
	v_lshl_or_b32 v83, v60, 12, v34
	v_add_nc_u32_e32 v62, 0xfffffc10, v62
	s_wait_alu 0xfffd
	v_cndmask_b32_e64 v34, 0, 1, vcc_lo
	v_cmp_ne_u32_e32 vcc_lo, 0, v28
	v_or_b32_e32 v84, 0x1000, v28
	v_lshrrev_b32_e32 v90, v47, v70
	v_lshl_or_b32 v85, v62, 12, v28
	v_lshlrev_b32_e32 v22, v22, v89
	s_wait_alu 0xfffd
	v_cndmask_b32_e64 v28, 0, 1, vcc_lo
	v_cmp_ne_u32_e32 vcc_lo, v8, v66
	v_lshrrev_b32_e32 v91, v49, v72
	v_lshlrev_b32_e32 v47, v47, v90
	v_lshrrev_b32_e32 v92, v51, v74
	v_lshrrev_b32_e32 v93, v53, v76
	s_wait_alu 0xfffd
	v_cndmask_b32_e64 v8, 0, 1, vcc_lo
	v_cmp_ne_u32_e32 vcc_lo, v22, v68
	v_lshlrev_b32_e32 v49, v49, v91
	v_lshl_or_b32 v10, v10, 9, 0x7c00
	v_lshrrev_b32_e32 v94, v55, v78
	v_lshlrev_b32_e32 v53, v53, v93
	s_wait_alu 0xfffd
	v_cndmask_b32_e64 v22, 0, 1, vcc_lo
	v_cmp_ne_u32_e32 vcc_lo, v47, v70
	v_lshrrev_b32_e32 v95, v57, v80
	v_lshl_or_b32 v20, v20, 9, 0x7c00
	v_lshlrev_b32_e32 v55, v55, v94
	v_or_b32_e32 v22, v89, v22
	v_lshlrev_b32_e32 v51, v51, v92
	s_wait_alu 0xfffd
	v_cndmask_b32_e64 v47, 0, 1, vcc_lo
	v_cmp_ne_u32_e32 vcc_lo, v49, v72
	v_lshl_or_b32 v26, v26, 9, 0x7c00
	v_lshrrev_b32_e32 v96, v59, v82
	v_lshlrev_b32_e32 v57, v57, v95
	v_or_b32_e32 v86, 0x1000, v36
	s_wait_alu 0xfffd
	v_cndmask_b32_e64 v49, 0, 1, vcc_lo
	v_cmp_ne_u32_e32 vcc_lo, v51, v74
	v_lshl_or_b32 v18, v18, 9, 0x7c00
	v_lshrrev_b32_e32 v97, v61, v84
	v_lshlrev_b32_e32 v59, v59, v96
	v_lshl_or_b32 v32, v32, 9, 0x7c00
	s_wait_alu 0xfffd
	v_cndmask_b32_e64 v51, 0, 1, vcc_lo
	v_cmp_ne_u32_e32 vcc_lo, v53, v76
	v_lshrrev_b32_e32 v98, v63, v86
	v_lshlrev_b32_e32 v61, v61, v97
	v_lshl_or_b32 v28, v28, 9, 0x7c00
	v_or_b32_e32 v8, v88, v8
	s_wait_alu 0xfffd
	v_cndmask_b32_e64 v53, 0, 1, vcc_lo
	v_cmp_ne_u32_e32 vcc_lo, v55, v78
	v_lshlrev_b32_e32 v63, v63, v98
	v_or_b32_e32 v47, v90, v47
	v_or_b32_e32 v49, v91, v49
	v_or_b32_e32 v51, v92, v51
	s_wait_alu 0xfffd
	v_cndmask_b32_e64 v55, 0, 1, vcc_lo
	v_cmp_ne_u32_e32 vcc_lo, v57, v80
	v_or_b32_e32 v53, v93, v53
	v_lshl_or_b32 v34, v34, 9, 0x7c00
	v_lshl_or_b32 v30, v30, 9, 0x7c00
	v_or_b32_e32 v55, v94, v55
	s_wait_alu 0xfffd
	v_cndmask_b32_e64 v57, 0, 1, vcc_lo
	v_cmp_ne_u32_e32 vcc_lo, v59, v82
	v_lshl_or_b32 v7, v7, 9, 0x7c00
	v_lshrrev_b32_e32 v9, 16, v9
	v_lshl_or_b32 v5, v5, 9, 0x7c00
	v_or_b32_e32 v57, v95, v57
	s_wait_alu 0xfffd
	v_cndmask_b32_e64 v59, 0, 1, vcc_lo
	v_cmp_ne_u32_e32 vcc_lo, v61, v84
	v_lshrrev_b32_e32 v27, 16, v27
	v_lshrrev_b32_e32 v11, 16, v11
	;; [unrolled: 1-line block ×3, first 2 shown]
	v_or_b32_e32 v59, v96, v59
	s_wait_alu 0xfffd
	v_cndmask_b32_e64 v61, 0, 1, vcc_lo
	v_cmp_ne_u32_e32 vcc_lo, v63, v86
	v_lshrrev_b32_e32 v6, 16, v6
	v_lshrrev_b32_e32 v31, 16, v31
	v_lshrrev_b32_e32 v19, 16, v19
	v_or_b32_e32 v61, v97, v61
	s_wait_alu 0xfffd
	v_cndmask_b32_e64 v63, 0, 1, vcc_lo
	v_cmp_gt_i32_e32 vcc_lo, 1, v13
	v_lshrrev_b32_e32 v21, 16, v21
	v_lshrrev_b32_e32 v65, 8, v39
	;; [unrolled: 1-line block ×3, first 2 shown]
	v_or_b32_e32 v63, v98, v63
	s_wait_alu 0xfffd
	v_cndmask_b32_e32 v8, v67, v8, vcc_lo
	v_cmp_gt_i32_e32 vcc_lo, 1, v46
	v_lshrrev_b32_e32 v29, 16, v29
	s_delay_alu instid0(VALU_DEP_3)
	v_and_b32_e32 v66, 7, v8
	s_wait_alu 0xfffd
	v_cndmask_b32_e32 v22, v69, v22, vcc_lo
	v_cmp_gt_i32_e32 vcc_lo, 1, v48
	v_lshrrev_b32_e32 v8, 2, v8
	v_cmp_eq_u32_e64 s0, 3, v66
	s_delay_alu instid0(VALU_DEP_4)
	v_and_b32_e32 v67, 7, v22
	s_wait_alu 0xfffd
	v_cndmask_b32_e32 v47, v71, v47, vcc_lo
	v_cmp_gt_i32_e32 vcc_lo, 1, v50
	v_lshrrev_b32_e32 v22, 2, v22
	v_cmp_lt_i32_e64 s1, 5, v67
	s_wait_alu 0xfffd
	v_dual_cndmask_b32 v49, v73, v49 :: v_dual_and_b32 v68, 7, v47
	v_cmp_gt_i32_e32 vcc_lo, 1, v52
	v_cmp_eq_u32_e64 s2, 3, v67
	v_lshrrev_b32_e32 v47, 2, v47
	s_delay_alu instid0(VALU_DEP_4)
	v_cmp_lt_i32_e64 s3, 5, v68
	v_and_b32_e32 v69, 7, v49
	s_wait_alu 0xfffd
	v_cndmask_b32_e32 v51, v75, v51, vcc_lo
	v_cmp_gt_i32_e32 vcc_lo, 1, v54
	v_cmp_eq_u32_e64 s4, 3, v68
	v_lshrrev_b32_e32 v49, 2, v49
	v_cmp_lt_i32_e64 s5, 5, v69
	s_wait_alu 0xfffd
	v_dual_cndmask_b32 v53, v77, v53 :: v_dual_and_b32 v70, 7, v51
	v_cmp_gt_i32_e32 vcc_lo, 1, v56
	v_cmp_eq_u32_e64 s6, 3, v69
	v_lshrrev_b32_e32 v51, 2, v51
	s_delay_alu instid0(VALU_DEP_4)
	v_cmp_lt_i32_e64 s7, 5, v70
	v_and_b32_e32 v71, 7, v53
	s_wait_alu 0xfffd
	v_cndmask_b32_e32 v55, v79, v55, vcc_lo
	v_cmp_gt_i32_e32 vcc_lo, 1, v58
	v_cmp_eq_u32_e64 s8, 3, v70
	v_lshrrev_b32_e32 v53, 2, v53
	v_cmp_lt_i32_e64 s9, 5, v71
	s_wait_alu 0xfffd
	v_dual_cndmask_b32 v57, v81, v57 :: v_dual_and_b32 v72, 7, v55
	v_cmp_gt_i32_e32 vcc_lo, 1, v60
	v_cmp_eq_u32_e64 s10, 3, v71
	v_lshrrev_b32_e32 v55, 2, v55
	s_delay_alu instid0(VALU_DEP_4)
	v_cmp_lt_i32_e64 s11, 5, v72
	v_and_b32_e32 v73, 7, v57
	s_wait_alu 0xfffd
	v_cndmask_b32_e32 v59, v83, v59, vcc_lo
	v_cmp_gt_i32_e32 vcc_lo, 1, v62
	v_add_nc_u32_e32 v64, 0xfffffc10, v64
	v_cmp_eq_u32_e64 s12, 3, v72
	v_cmp_lt_i32_e64 s13, 5, v73
	s_wait_alu 0xfffd
	v_dual_cndmask_b32 v61, v85, v61 :: v_dual_and_b32 v74, 7, v59
	v_lshl_or_b32 v87, v64, 12, v36
	v_cmp_gt_i32_e32 vcc_lo, 1, v64
	v_cmp_eq_u32_e64 s14, 3, v73
	v_lshrrev_b32_e32 v57, 2, v57
	v_and_b32_e32 v75, 7, v61
	v_cmp_lt_i32_e64 s15, 5, v74
	s_wait_alu 0xfffd
	v_cndmask_b32_e32 v63, v87, v63, vcc_lo
	v_cmp_lt_i32_e32 vcc_lo, 5, v66
	v_cmp_eq_u32_e64 s16, 3, v74
	v_lshrrev_b32_e32 v59, 2, v59
	v_cmp_lt_i32_e64 s17, 5, v75
	v_cmp_eq_u32_e64 s18, 3, v75
	s_or_b32 vcc_lo, s0, vcc_lo
	v_lshrrev_b32_e32 v61, 2, v61
	s_wait_alu 0xfffe
	v_add_co_ci_u32_e32 v8, vcc_lo, 0, v8, vcc_lo
	s_or_b32 vcc_lo, s2, s1
	s_wait_alu 0xfffe
	v_add_co_ci_u32_e32 v22, vcc_lo, 0, v22, vcc_lo
	s_or_b32 vcc_lo, s4, s3
	;; [unrolled: 3-line block ×9, first 2 shown]
	s_wait_alu 0xfffe
	v_add_co_ci_u32_e32 v61, vcc_lo, 0, v61, vcc_lo
	v_cmp_gt_i32_e32 vcc_lo, 31, v13
	s_wait_alu 0xfffd
	v_cndmask_b32_e32 v8, 0x7c00, v8, vcc_lo
	v_cmp_gt_i32_e32 vcc_lo, 31, v46
	s_wait_alu 0xfffd
	v_cndmask_b32_e32 v22, 0x7c00, v22, vcc_lo
	;; [unrolled: 3-line block ×10, first 2 shown]
	v_cmp_eq_u32_e32 vcc_lo, 0x40f, v13
	s_wait_alu 0xfffd
	v_cndmask_b32_e32 v7, v8, v7, vcc_lo
	v_cmp_eq_u32_e32 vcc_lo, 0x40f, v46
	s_delay_alu instid0(VALU_DEP_2) | instskip(SKIP_3) | instid1(VALU_DEP_2)
	v_and_or_b32 v7, 0x8000, v9, v7
	s_wait_alu 0xfffd
	v_cndmask_b32_e32 v8, v22, v10, vcc_lo
	v_cmp_eq_u32_e32 vcc_lo, 0x40f, v48
	v_and_or_b32 v8, 0x8000, v11, v8
	s_wait_alu 0xfffd
	v_cndmask_b32_e32 v10, v47, v26, vcc_lo
	v_cmp_eq_u32_e32 vcc_lo, 0x40f, v50
	s_delay_alu instid0(VALU_DEP_2) | instskip(SKIP_4) | instid1(VALU_DEP_3)
	v_and_or_b32 v9, 0x8000, v27, v10
	s_wait_alu 0xfffd
	v_cndmask_b32_e32 v13, v49, v30, vcc_lo
	v_cmp_eq_u32_e32 vcc_lo, 0x40f, v52
	v_lshrrev_b32_e32 v30, 16, v37
	v_and_or_b32 v10, 0x8000, v31, v13
	s_wait_alu 0xfffd
	v_cndmask_b32_e32 v22, v51, v32, vcc_lo
	v_cmp_eq_u32_e32 vcc_lo, 0x40f, v54
	s_delay_alu instid0(VALU_DEP_2) | instskip(SKIP_4) | instid1(VALU_DEP_3)
	v_and_or_b32 v11, 0x8000, v33, v22
	s_wait_alu 0xfffd
	v_cndmask_b32_e32 v18, v53, v18, vcc_lo
	v_cmp_eq_u32_e32 vcc_lo, 0x40f, v56
	v_and_or_b32 v22, 0xffe, v65, v38
	v_and_or_b32 v13, 0x8000, v19, v18
	s_wait_alu 0xfffd
	v_cndmask_b32_e32 v5, v55, v5, vcc_lo
	v_cmp_eq_u32_e32 vcc_lo, 0x40f, v58
	s_delay_alu instid0(VALU_DEP_2)
	v_and_or_b32 v5, 0x8000, v6, v5
	v_and_b32_e32 v6, 0xffff, v7
	v_and_b32_e32 v7, 0xffff, v9
	s_wait_alu 0xfffd
	v_dual_cndmask_b32 v20, v57, v20 :: v_dual_and_b32 v9, 0xffff, v11
	v_cmp_eq_u32_e32 vcc_lo, 0x40f, v60
	v_lshl_or_b32 v6, v8, 16, v6
	v_lshl_or_b32 v7, v10, 16, v7
	s_delay_alu instid0(VALU_DEP_4)
	v_lshl_or_b32 v8, v13, 16, v9
	v_and_or_b32 v11, 0x8000, v21, v20
	v_and_b32_e32 v5, 0xffff, v5
	s_clause 0x2
	global_store_b32 v[3:4], v6, off
	global_store_b32 v[40:41], v7, off
	;; [unrolled: 1-line block ×3, first 2 shown]
	v_cvt_f64_f32_e32 v[3:4], v1
	v_bfe_u32 v1, v39, 20, 11
	s_wait_alu 0xfffd
	v_cndmask_b32_e32 v26, v59, v34, vcc_lo
	v_cmp_eq_u32_e32 vcc_lo, 0x40f, v62
	v_lshl_or_b32 v11, v11, 16, v5
	ds_load_2addr_b32 v[5:6], v25 offset0:49 offset1:56
	v_sub_nc_u32_e32 v18, 0x3f1, v1
	v_and_b32_e32 v10, 7, v63
	s_wait_alu 0xfffd
	v_cndmask_b32_e32 v28, v61, v28, vcc_lo
	v_and_or_b32 v9, 0x8000, v35, v26
	v_mul_f64_e32 v[7:8], s[28:29], v[44:45]
	v_or_b32_e32 v20, 0x1000, v22
	v_med3_i32 v18, v18, 0, 13
	v_cmp_lt_i32_e32 vcc_lo, 5, v10
	v_cmp_eq_u32_e64 s0, 3, v10
	v_and_or_b32 v13, 0x8000, v29, v28
	v_and_b32_e32 v19, 0xffff, v9
	v_lshrrev_b32_e32 v21, 2, v63
	v_lshrrev_b32_e32 v26, v18, v20
	s_or_b32 vcc_lo, s0, vcc_lo
	s_wait_loadcnt 0x3
	v_lshrrev_b32_e32 v28, 16, v15
	v_lshl_or_b32 v13, v13, 16, v19
	s_wait_alu 0xfffe
	v_add_co_ci_u32_e32 v19, vcc_lo, 0, v21, vcc_lo
	v_lshlrev_b32_e32 v18, v18, v26
	v_cmp_ne_u32_e32 vcc_lo, 0, v36
	s_wait_dscnt 0x0
	v_lshrrev_b32_e32 v27, 16, v5
	v_add_nc_u32_e32 v1, 0xfffffc10, v1
	v_add_co_u32 v9, s1, v42, s26
	s_wait_alu 0xfffd
	v_cndmask_b32_e64 v21, 0, 1, vcc_lo
	v_cmp_ne_u32_e32 vcc_lo, v18, v20
	v_mul_f16_e32 v20, v27, v28
	s_wait_alu 0xf1ff
	v_add_co_ci_u32_e64 v10, s1, s27, v43, s1
	v_lshl_or_b32 v21, v21, 9, 0x7c00
	s_wait_alu 0xfffd
	v_cndmask_b32_e64 v18, 0, 1, vcc_lo
	v_cmp_gt_i32_e32 vcc_lo, 31, v64
	v_fmac_f16_e32 v20, v5, v15
	v_mul_f64_e32 v[3:4], s[28:29], v[3:4]
	v_mul_f16_e32 v5, v5, v28
	v_or_b32_e32 v18, v26, v18
	s_wait_alu 0xfffd
	v_cndmask_b32_e32 v19, 0x7c00, v19, vcc_lo
	v_cmp_eq_u32_e32 vcc_lo, 0x40f, v64
	v_lshl_or_b32 v26, v1, 12, v22
	v_fma_f16 v5, v15, v27, -v5
	s_wait_alu 0xfffd
	v_cndmask_b32_e32 v29, v19, v21, vcc_lo
	v_cvt_f32_f16_e32 v19, v20
	v_cmp_gt_i32_e32 vcc_lo, 1, v1
	v_and_or_b32 v7, 0x1ff, v8, v7
	v_lshrrev_b32_e32 v31, 8, v8
	v_and_or_b32 v29, 0x8000, v30, v29
	v_bfe_u32 v32, v8, 20, 11
	s_wait_alu 0xfffd
	v_cndmask_b32_e32 v26, v26, v18, vcc_lo
	v_cvt_f64_f32_e32 v[18:19], v19
	v_add_co_u32 v20, vcc_lo, v9, s26
	s_wait_alu 0xfffd
	v_add_co_ci_u32_e32 v21, vcc_lo, s27, v10, vcc_lo
	v_and_b32_e32 v30, 7, v26
	v_cmp_ne_u32_e32 vcc_lo, 0, v7
	v_lshrrev_b32_e32 v26, 2, v26
	v_cvt_f32_f16_e32 v5, v5
	v_and_b32_e32 v29, 0xffff, v29
	v_cmp_eq_u32_e64 s0, 3, v30
	s_wait_alu 0xfffd
	v_cndmask_b32_e64 v7, 0, 1, vcc_lo
	v_cmp_lt_i32_e32 vcc_lo, 5, v30
	v_sub_nc_u32_e32 v30, 0x3f1, v32
	s_delay_alu instid0(VALU_DEP_3)
	v_and_or_b32 v7, 0xffe, v31, v7
	s_or_b32 vcc_lo, s0, vcc_lo
	global_load_b32 v31, v23, s[24:25] offset:308
	s_wait_alu 0xfffe
	v_add_co_ci_u32_e32 v26, vcc_lo, 0, v26, vcc_lo
	v_cmp_ne_u32_e32 vcc_lo, 0, v22
	v_or_b32_e32 v33, 0x1000, v7
	v_med3_i32 v30, v30, 0, 13
	v_and_or_b32 v3, 0x1ff, v4, v3
	s_clause 0x1
	global_store_b32 v[9:10], v11, off
	global_store_b32 v[20:21], v13, off
	s_wait_alu 0xfffd
	v_cndmask_b32_e64 v22, 0, 1, vcc_lo
	v_cmp_gt_i32_e32 vcc_lo, 31, v1
	v_lshrrev_b32_e32 v28, v30, v33
	s_delay_alu instid0(VALU_DEP_3)
	v_lshl_or_b32 v22, v22, 9, 0x7c00
	s_wait_alu 0xfffd
	v_cndmask_b32_e32 v26, 0x7c00, v26, vcc_lo
	v_cmp_eq_u32_e32 vcc_lo, 0x40f, v1
	v_lshlrev_b32_e32 v15, v30, v28
	v_bfe_u32 v30, v4, 20, 11
	s_wait_alu 0xfffd
	v_cndmask_b32_e32 v1, v26, v22, vcc_lo
	v_cmp_ne_u32_e32 vcc_lo, 0, v3
	v_mul_f64_e32 v[18:19], s[28:29], v[18:19]
	v_cvt_f64_f32_e32 v[26:27], v5
	v_lshrrev_b32_e32 v22, 8, v4
	v_lshrrev_b32_e32 v4, 16, v4
	s_wait_alu 0xfffd
	v_cndmask_b32_e64 v3, 0, 1, vcc_lo
	v_cmp_ne_u32_e32 vcc_lo, v15, v33
	v_add_nc_u32_e32 v15, 0xfffffc10, v32
	v_lshrrev_b32_e32 v32, 16, v39
	s_delay_alu instid0(VALU_DEP_4)
	v_and_or_b32 v3, 0xffe, v22, v3
	s_wait_alu 0xfffd
	v_cndmask_b32_e64 v5, 0, 1, vcc_lo
	v_sub_nc_u32_e32 v22, 0x3f1, v30
	v_cmp_gt_i32_e32 vcc_lo, 1, v15
	v_and_or_b32 v1, 0x8000, v32, v1
	v_or_b32_e32 v33, 0x1000, v3
	v_or_b32_e32 v5, v28, v5
	v_lshl_or_b32 v28, v15, 12, v7
	v_med3_i32 v22, v22, 0, 13
	v_lshl_or_b32 v1, v1, 16, v29
	v_lshrrev_b32_e32 v29, 16, v6
	s_wait_loadcnt 0x3
	v_lshrrev_b32_e32 v32, 16, v16
	s_wait_alu 0xfffd
	v_cndmask_b32_e32 v5, v28, v5, vcc_lo
	v_lshrrev_b32_e32 v28, v22, v33
	v_add_co_u32 v9, vcc_lo, v20, s26
	s_wait_alu 0xfffd
	v_add_co_ci_u32_e32 v10, vcc_lo, s27, v21, vcc_lo
	s_delay_alu instid0(VALU_DEP_3)
	v_lshlrev_b32_e32 v13, v22, v28
	v_and_b32_e32 v11, 7, v5
	v_add_nc_u32_e32 v22, 0xfffffc10, v30
	v_lshrrev_b32_e32 v5, 2, v5
	global_load_b32 v30, v23, s[24:25] offset:336
	v_cmp_ne_u32_e64 s0, v13, v33
	v_cmp_lt_i32_e32 vcc_lo, 5, v11
	v_cmp_gt_i32_e64 s1, 1, v22
	global_store_b32 v[9:10], v1, off
	s_wait_alu 0xf1ff
	v_cndmask_b32_e64 v13, 0, 1, s0
	v_cmp_eq_u32_e64 s0, 3, v11
	v_and_or_b32 v18, 0x1ff, v19, v18
	v_mul_f64_e32 v[20:21], s[28:29], v[26:27]
	v_bfe_u32 v33, v19, 20, 11
	v_or_b32_e32 v11, v28, v13
	v_lshl_or_b32 v13, v22, 12, v3
	v_mul_f16_e32 v28, v29, v32
	s_or_b32 vcc_lo, s0, vcc_lo
	s_wait_alu 0xfffe
	v_add_co_ci_u32_e32 v5, vcc_lo, 0, v5, vcc_lo
	v_cndmask_b32_e64 v11, v13, v11, s1
	v_cmp_ne_u32_e64 s1, 0, v18
	v_fmac_f16_e32 v28, v6, v16
	v_lshrrev_b32_e32 v18, 8, v19
	v_cmp_ne_u32_e32 vcc_lo, 0, v7
	v_mul_f16_e32 v6, v6, v32
	s_wait_alu 0xf1ff
	v_cndmask_b32_e64 v13, 0, 1, s1
	v_cvt_f32_f16_e32 v26, v28
	v_and_b32_e32 v28, 7, v11
	s_wait_alu 0xfffd
	v_cndmask_b32_e64 v7, 0, 1, vcc_lo
	v_lshrrev_b32_e32 v11, 2, v11
	v_and_or_b32 v13, 0xffe, v18, v13
	v_sub_nc_u32_e32 v18, 0x3f1, v33
	v_cvt_f64_f32_e32 v[26:27], v26
	v_cmp_lt_i32_e32 vcc_lo, 5, v28
	v_cmp_eq_u32_e64 s0, 3, v28
	v_or_b32_e32 v28, 0x1000, v13
	v_med3_i32 v18, v18, 0, 13
	v_cmp_gt_i32_e64 s1, 31, v15
	v_lshl_or_b32 v7, v7, 9, 0x7c00
	s_or_b32 vcc_lo, s0, vcc_lo
	v_fma_f16 v6, v16, v29, -v6
	s_wait_alu 0xfffe
	v_add_co_ci_u32_e32 v11, vcc_lo, 0, v11, vcc_lo
	v_cndmask_b32_e64 v5, 0x7c00, v5, s1
	v_lshrrev_b32_e32 v34, v18, v28
	v_cmp_eq_u32_e32 vcc_lo, 0x40f, v15
	v_lshrrev_b32_e32 v19, 16, v19
	v_lshrrev_b32_e32 v29, 8, v21
	v_bfe_u32 v32, v21, 20, 11
	s_wait_alu 0xfffd
	v_cndmask_b32_e32 v15, v5, v7, vcc_lo
	v_lshlrev_b32_e32 v5, v18, v34
	v_cmp_gt_i32_e32 vcc_lo, 31, v22
	v_and_or_b32 v7, 0x1ff, v21, v20
	v_add_nc_u32_e32 v20, 0xfffffc10, v33
	v_lshrrev_b32_e32 v18, 16, v8
	v_lshrrev_b32_e32 v21, 16, v21
	s_wait_alu 0xfffd
	v_cndmask_b32_e32 v11, 0x7c00, v11, vcc_lo
	v_cmp_ne_u32_e32 vcc_lo, v5, v28
	v_lshl_or_b32 v33, v20, 12, v13
	s_wait_alu 0xfffd
	v_cndmask_b32_e64 v5, 0, 1, vcc_lo
	v_cmp_ne_u32_e32 vcc_lo, 0, v3
	s_delay_alu instid0(VALU_DEP_2)
	v_or_b32_e32 v16, v34, v5
	s_wait_alu 0xfffd
	v_cndmask_b32_e64 v3, 0, 1, vcc_lo
	v_cmp_ne_u32_e32 vcc_lo, 0, v7
	v_cvt_f32_f16_e32 v7, v6
	v_mul_f64_e32 v[5:6], s[28:29], v[26:27]
	v_sub_nc_u32_e32 v27, 0x3f1, v32
	v_lshl_or_b32 v3, v3, 9, 0x7c00
	s_wait_alu 0xfffd
	v_cndmask_b32_e64 v28, 0, 1, vcc_lo
	v_cmp_gt_i32_e32 vcc_lo, 1, v20
	v_cvt_f64_f32_e32 v[7:8], v7
	v_med3_i32 v27, v27, 0, 13
	s_delay_alu instid0(VALU_DEP_4) | instskip(SKIP_3) | instid1(VALU_DEP_3)
	v_and_or_b32 v26, 0xffe, v29, v28
	s_wait_alu 0xfffd
	v_cndmask_b32_e32 v16, v33, v16, vcc_lo
	v_cmp_eq_u32_e32 vcc_lo, 0x40f, v22
	v_or_b32_e32 v28, 0x1000, v26
	s_wait_alu 0xfffd
	v_cndmask_b32_e32 v3, v11, v3, vcc_lo
	v_and_or_b32 v11, 0x8000, v18, v15
	v_and_b32_e32 v18, 7, v16
	v_lshrrev_b32_e32 v15, v27, v28
	v_lshrrev_b32_e32 v16, 2, v16
	s_delay_alu instid0(VALU_DEP_4) | instskip(NEXT) | instid1(VALU_DEP_4)
	v_and_b32_e32 v11, 0xffff, v11
	v_cmp_lt_i32_e32 vcc_lo, 5, v18
	s_delay_alu instid0(VALU_DEP_4) | instskip(SKIP_1) | instid1(VALU_DEP_2)
	v_lshlrev_b32_e32 v22, v27, v15
	v_cmp_eq_u32_e64 s0, 3, v18
	v_cmp_ne_u32_e64 s1, v22, v28
	v_add_nc_u32_e32 v22, 0xfffffc10, v32
	v_and_or_b32 v1, 0x8000, v4, v3
	ds_load_2addr_b32 v[3:4], v25 offset0:63 offset1:70
	s_or_b32 vcc_lo, s0, vcc_lo
	v_cndmask_b32_e64 v18, 0, 1, s1
	s_wait_alu 0xfffe
	v_add_co_ci_u32_e32 v16, vcc_lo, 0, v16, vcc_lo
	v_cmp_ne_u32_e32 vcc_lo, 0, v13
	v_lshl_or_b32 v1, v1, 16, v11
	v_or_b32_e32 v15, v15, v18
	v_lshl_or_b32 v18, v22, 12, v26
	v_bfe_u32 v28, v6, 20, 11
	s_wait_alu 0xfffd
	v_cndmask_b32_e64 v13, 0, 1, vcc_lo
	v_cmp_gt_i32_e32 vcc_lo, 31, v20
	v_mul_f64_e32 v[7:8], s[28:29], v[7:8]
	v_and_or_b32 v5, 0x1ff, v6, v5
	v_lshrrev_b32_e32 v27, 8, v6
	v_lshl_or_b32 v13, v13, 9, 0x7c00
	s_wait_alu 0xfffd
	v_cndmask_b32_e32 v16, 0x7c00, v16, vcc_lo
	v_cmp_gt_i32_e32 vcc_lo, 1, v22
	s_wait_alu 0xfffd
	v_cndmask_b32_e32 v15, v18, v15, vcc_lo
	v_cmp_eq_u32_e32 vcc_lo, 0x40f, v20
	s_wait_dscnt 0x0
	v_lshrrev_b32_e32 v18, 16, v3
	s_wait_loadcnt 0x3
	v_lshrrev_b32_e32 v20, 16, v17
	s_delay_alu instid0(VALU_DEP_1) | instskip(NEXT) | instid1(VALU_DEP_1)
	v_mul_f16_e32 v29, v18, v20
	v_fmac_f16_e32 v29, v3, v17
	v_mul_f16_e32 v3, v3, v20
	s_wait_alu 0xfffd
	v_dual_cndmask_b32 v13, v16, v13 :: v_dual_add_nc_u32 v20, 0xfffffc10, v28
	v_and_b32_e32 v16, 7, v15
	v_cmp_ne_u32_e32 vcc_lo, 0, v5
	v_lshrrev_b32_e32 v15, 2, v15
	v_fma_f16 v3, v17, v18, -v3
	v_and_or_b32 v11, 0x8000, v19, v13
	v_cmp_eq_u32_e64 s0, 3, v16
	s_wait_alu 0xfffd
	v_cndmask_b32_e64 v5, 0, 1, vcc_lo
	v_cmp_lt_i32_e32 vcc_lo, 5, v16
	v_cvt_f32_f16_e32 v16, v29
	v_cvt_f32_f16_e32 v3, v3
	v_and_b32_e32 v11, 0xffff, v11
	v_and_or_b32 v5, 0xffe, v27, v5
	v_sub_nc_u32_e32 v27, 0x3f1, v28
	s_or_b32 vcc_lo, s0, vcc_lo
	v_and_or_b32 v7, 0x1ff, v8, v7
	s_wait_alu 0xfffe
	v_add_co_ci_u32_e32 v29, vcc_lo, 0, v15, vcc_lo
	v_or_b32_e32 v32, 0x1000, v5
	v_med3_i32 v27, v27, 0, 13
	v_cmp_ne_u32_e32 vcc_lo, 0, v26
	v_cvt_f64_f32_e32 v[15:16], v16
	v_lshrrev_b32_e32 v17, 8, v8
	s_delay_alu instid0(VALU_DEP_4) | instskip(SKIP_3) | instid1(VALU_DEP_3)
	v_lshrrev_b32_e32 v33, v27, v32
	s_wait_alu 0xfffd
	v_cndmask_b32_e64 v26, 0, 1, vcc_lo
	v_cmp_gt_i32_e32 vcc_lo, 31, v22
	v_lshlrev_b32_e32 v13, v27, v33
	s_delay_alu instid0(VALU_DEP_3)
	v_lshl_or_b32 v26, v26, 9, 0x7c00
	s_wait_alu 0xfffd
	v_cndmask_b32_e32 v29, 0x7c00, v29, vcc_lo
	v_cmp_eq_u32_e32 vcc_lo, 0x40f, v22
	v_bfe_u32 v22, v8, 20, 11
	s_wait_alu 0xfffd
	s_delay_alu instid0(VALU_DEP_3) | instskip(SKIP_3) | instid1(VALU_DEP_4)
	v_cndmask_b32_e32 v19, v29, v26, vcc_lo
	v_cmp_ne_u32_e32 vcc_lo, v13, v32
	v_lshl_or_b32 v26, v20, 12, v5
	v_sub_nc_u32_e32 v27, 0x3f1, v22
	v_and_or_b32 v19, 0x8000, v21, v19
	s_wait_alu 0xfffd
	v_cndmask_b32_e64 v13, 0, 1, vcc_lo
	v_cmp_ne_u32_e32 vcc_lo, 0, v7
	s_delay_alu instid0(VALU_DEP_3) | instskip(NEXT) | instid1(VALU_DEP_3)
	v_lshl_or_b32 v11, v19, 16, v11
	v_or_b32_e32 v13, v33, v13
	s_wait_alu 0xfffd
	v_cndmask_b32_e64 v7, 0, 1, vcc_lo
	v_cmp_gt_i32_e32 vcc_lo, 1, v20
	s_delay_alu instid0(VALU_DEP_2)
	v_and_or_b32 v7, 0xffe, v17, v7
	v_cvt_f64_f32_e32 v[17:18], v3
	s_wait_alu 0xfffd
	v_cndmask_b32_e32 v3, v26, v13, vcc_lo
	v_med3_i32 v26, v27, 0, 13
	v_add_co_u32 v9, vcc_lo, v9, s26
	v_or_b32_e32 v13, 0x1000, v7
	s_wait_alu 0xfffd
	v_add_co_ci_u32_e32 v10, vcc_lo, s27, v10, vcc_lo
	v_and_b32_e32 v27, 7, v3
	v_mul_f64_e32 v[15:16], s[28:29], v[15:16]
	v_lshrrev_b32_e32 v21, v26, v13
	global_store_b32 v[9:10], v1, off
	v_lshrrev_b32_e32 v3, 2, v3
	v_cmp_lt_i32_e32 vcc_lo, 5, v27
	v_cmp_eq_u32_e64 s0, 3, v27
	v_lshlrev_b32_e32 v1, v26, v21
	s_delay_alu instid0(VALU_DEP_2) | instskip(NEXT) | instid1(VALU_DEP_1)
	s_or_b32 vcc_lo, s0, vcc_lo
	v_cmp_ne_u32_e64 s1, v1, v13
	s_wait_alu 0xfffe
	v_add_co_ci_u32_e32 v3, vcc_lo, 0, v3, vcc_lo
	v_add_nc_u32_e32 v13, 0xfffffc10, v22
	v_cmp_ne_u32_e32 vcc_lo, 0, v5
	s_wait_alu 0xf1ff
	v_cndmask_b32_e64 v1, 0, 1, s1
	s_wait_loadcnt 0x2
	v_lshrrev_b32_e32 v22, 16, v14
	v_lshl_or_b32 v19, v13, 12, v7
	s_wait_alu 0xfffd
	v_cndmask_b32_e64 v5, 0, 1, vcc_lo
	v_or_b32_e32 v1, v21, v1
	v_cmp_gt_i32_e32 vcc_lo, 1, v13
	v_lshrrev_b32_e32 v21, 16, v4
	s_delay_alu instid0(VALU_DEP_4)
	v_lshl_or_b32 v5, v5, 9, 0x7c00
	s_wait_alu 0xfffd
	v_cndmask_b32_e32 v1, v19, v1, vcc_lo
	v_cmp_gt_i32_e32 vcc_lo, 31, v20
	v_mul_f16_e32 v19, v21, v22
	v_mul_f64_e32 v[17:18], s[28:29], v[17:18]
	s_wait_alu 0xfffd
	v_dual_cndmask_b32 v3, 0x7c00, v3 :: v_dual_and_b32 v26, 7, v1
	v_add_co_u32 v9, vcc_lo, v9, s26
	s_wait_alu 0xfffd
	v_add_co_ci_u32_e32 v10, vcc_lo, s27, v10, vcc_lo
	v_fmac_f16_e32 v19, v4, v14
	v_cmp_eq_u32_e32 vcc_lo, 0x40f, v20
	v_cmp_eq_u32_e64 s0, 3, v26
	v_lshrrev_b32_e32 v1, 2, v1
	v_and_or_b32 v15, 0x1ff, v16, v15
	v_bfe_u32 v27, v16, 20, 11
	s_wait_alu 0xfffd
	v_cndmask_b32_e32 v3, v3, v5, vcc_lo
	v_cvt_f32_f16_e32 v5, v19
	v_cmp_lt_i32_e32 vcc_lo, 5, v26
	v_lshrrev_b32_e32 v26, 16, v6
	v_lshrrev_b32_e32 v19, 8, v16
	v_sub_nc_u32_e32 v28, 0x3f1, v27
	v_cvt_f64_f32_e32 v[5:6], v5
	s_or_b32 vcc_lo, s0, vcc_lo
	global_store_b32 v[9:10], v11, off
	s_wait_alu 0xfffe
	v_add_co_ci_u32_e32 v1, vcc_lo, 0, v1, vcc_lo
	v_cmp_ne_u32_e32 vcc_lo, 0, v15
	v_med3_i32 v28, v28, 0, 13
	v_lshrrev_b32_e32 v16, 16, v16
	v_mad_co_u64_u32 v[9:10], null, s20, 56, v[9:10]
	s_wait_alu 0xfffd
	v_cndmask_b32_e64 v15, 0, 1, vcc_lo
	v_cmp_ne_u32_e32 vcc_lo, 0, v7
	s_delay_alu instid0(VALU_DEP_2)
	v_and_or_b32 v15, 0xffe, v19, v15
	s_wait_alu 0xfffd
	v_cndmask_b32_e64 v7, 0, 1, vcc_lo
	v_cmp_gt_i32_e32 vcc_lo, 31, v13
	v_mad_co_u64_u32 v[19:20], null, s20, v24, 0
	v_or_b32_e32 v29, 0x1000, v15
	s_delay_alu instid0(VALU_DEP_4)
	v_lshl_or_b32 v7, v7, 9, 0x7c00
	s_wait_alu 0xfffd
	v_cndmask_b32_e32 v1, 0x7c00, v1, vcc_lo
	v_cmp_eq_u32_e32 vcc_lo, 0x40f, v13
	v_and_or_b32 v13, 0x8000, v26, v3
	v_lshrrev_b32_e32 v11, v28, v29
	v_lshrrev_b32_e32 v26, 8, v18
	s_wait_alu 0xfffd
	v_cndmask_b32_e32 v1, v1, v7, vcc_lo
	v_lshrrev_b32_e32 v7, 16, v8
	v_and_or_b32 v8, 0x1ff, v18, v17
	v_lshlrev_b32_e32 v3, v28, v11
	v_bfe_u32 v28, v18, 20, 11
	v_and_b32_e32 v13, 0xffff, v13
	v_and_or_b32 v17, 0x8000, v7, v1
	v_cmp_ne_u32_e32 vcc_lo, 0, v8
	v_mov_b32_e32 v1, v20
	v_mul_f64_e32 v[5:6], s[28:29], v[5:6]
	s_wait_alu 0xfffd
	v_cndmask_b32_e64 v20, 0, 1, vcc_lo
	s_delay_alu instid0(VALU_DEP_3) | instskip(SKIP_2) | instid1(VALU_DEP_4)
	v_mad_co_u64_u32 v[7:8], null, s21, v24, v[1:2]
	v_cmp_ne_u32_e32 vcc_lo, v3, v29
	v_sub_nc_u32_e32 v8, 0x3f1, v28
	v_and_or_b32 v24, 0xffe, v26, v20
	v_mul_f16_e32 v20, v4, v22
	ds_load_2addr_b32 v[3:4], v25 offset0:77 offset1:84
	s_wait_alu 0xfffd
	v_cndmask_b32_e64 v1, 0, 1, vcc_lo
	v_add_nc_u32_e32 v22, 0xfffffc10, v27
	v_or_b32_e32 v26, 0x1000, v24
	v_med3_i32 v8, v8, 0, 13
	v_fma_f16 v14, v14, v21, -v20
	v_mov_b32_e32 v20, v7
	v_or_b32_e32 v1, v11, v1
	v_lshl_or_b32 v7, v22, 12, v15
	v_lshrrev_b32_e32 v11, v8, v26
	v_cmp_gt_i32_e32 vcc_lo, 1, v22
	v_cvt_f32_f16_e32 v14, v14
	v_lshl_or_b32 v27, v17, 16, v13
	s_wait_alu 0xfffd
	v_cndmask_b32_e32 v21, v7, v1, vcc_lo
	v_lshlrev_b32_e32 v1, v8, v11
	v_cvt_f64_f32_e32 v[7:8], v14
	v_lshlrev_b64_e32 v[13:14], 2, v[19:20]
	v_add_nc_u32_e32 v20, 0xfffffc10, v28
	s_wait_loadcnt 0x1
	v_lshrrev_b32_e32 v28, 16, v31
	v_cmp_ne_u32_e32 vcc_lo, v1, v26
	s_wait_dscnt 0x0
	v_lshrrev_b32_e32 v26, 16, v3
	v_and_b32_e32 v17, 7, v21
	v_cmp_gt_i32_e64 s1, 1, v20
	s_wait_alu 0xfffd
	v_cndmask_b32_e64 v19, 0, 1, vcc_lo
	v_add_co_u32 v0, vcc_lo, v0, v13
	s_wait_alu 0xfffd
	v_add_co_ci_u32_e32 v1, vcc_lo, v2, v14, vcc_lo
	v_mul_f16_e32 v2, v26, v28
	v_cmp_lt_i32_e32 vcc_lo, 5, v17
	v_cmp_eq_u32_e64 s0, 3, v17
	v_lshrrev_b32_e32 v14, 2, v21
	v_or_b32_e32 v11, v11, v19
	v_fmac_f16_e32 v2, v3, v31
	v_lshl_or_b32 v13, v20, 12, v24
	v_and_or_b32 v5, 0x1ff, v6, v5
	s_or_b32 vcc_lo, s0, vcc_lo
	v_bfe_u32 v21, v6, 20, 11
	v_cvt_f32_f16_e32 v2, v2
	s_wait_alu 0xfffe
	v_add_co_ci_u32_e32 v17, vcc_lo, 0, v14, vcc_lo
	v_cndmask_b32_e64 v11, v13, v11, s1
	v_cmp_ne_u32_e32 vcc_lo, 0, v5
	v_cvt_f64_f32_e32 v[13:14], v2
	v_lshrrev_b32_e32 v5, 8, v6
	v_cmp_ne_u32_e64 s1, 0, v15
	v_and_b32_e32 v19, 7, v11
	s_wait_alu 0xfffd
	v_cndmask_b32_e64 v2, 0, 1, vcc_lo
	v_cmp_gt_i32_e32 vcc_lo, 31, v22
	v_lshrrev_b32_e32 v11, 2, v11
	s_wait_alu 0xf1ff
	v_cndmask_b32_e64 v15, 0, 1, s1
	v_cmp_eq_u32_e64 s0, 3, v19
	v_mul_f64_e32 v[7:8], s[28:29], v[7:8]
	s_wait_alu 0xfffd
	v_cndmask_b32_e32 v17, 0x7c00, v17, vcc_lo
	v_cmp_lt_i32_e32 vcc_lo, 5, v19
	v_and_or_b32 v5, 0xffe, v5, v2
	v_sub_nc_u32_e32 v2, 0x3f1, v21
	v_lshl_or_b32 v15, v15, 9, 0x7c00
	v_mul_f16_e32 v3, v3, v28
	s_or_b32 vcc_lo, s0, vcc_lo
	v_or_b32_e32 v19, 0x1000, v5
	s_wait_alu 0xfffe
	v_add_co_ci_u32_e32 v11, vcc_lo, 0, v11, vcc_lo
	v_cmp_ne_u32_e32 vcc_lo, 0, v24
	v_med3_i32 v2, v2, 0, 13
	v_fma_f16 v3, v31, v26, -v3
	v_lshrrev_b32_e32 v6, 16, v6
	s_wait_alu 0xfffd
	v_cndmask_b32_e64 v24, 0, 1, vcc_lo
	v_cmp_gt_i32_e32 vcc_lo, 31, v20
	v_lshrrev_b32_e32 v29, v2, v19
	v_cvt_f32_f16_e32 v3, v3
	s_delay_alu instid0(VALU_DEP_4)
	v_lshl_or_b32 v24, v24, 9, 0x7c00
	s_wait_alu 0xfffd
	v_cndmask_b32_e32 v11, 0x7c00, v11, vcc_lo
	v_cmp_eq_u32_e32 vcc_lo, 0x40f, v22
	v_lshlrev_b32_e32 v2, v2, v29
	v_lshrrev_b32_e32 v22, 16, v4
	s_wait_alu 0xfffd
	v_cndmask_b32_e32 v15, v17, v15, vcc_lo
	v_cmp_eq_u32_e32 vcc_lo, 0x40f, v20
	v_mul_f64_e32 v[13:14], s[28:29], v[13:14]
	v_lshrrev_b32_e32 v17, 16, v18
	s_delay_alu instid0(VALU_DEP_4)
	v_and_or_b32 v15, 0x8000, v16, v15
	s_wait_alu 0xfffd
	v_cndmask_b32_e32 v11, v11, v24, vcc_lo
	v_cmp_ne_u32_e32 vcc_lo, v2, v19
	v_add_nc_u32_e32 v19, 0xfffffc10, v21
	s_wait_loadcnt 0x0
	v_lshrrev_b32_e32 v24, 16, v30
	v_and_or_b32 v7, 0x1ff, v8, v7
	v_and_or_b32 v20, 0x8000, v17, v11
	s_wait_alu 0xfffd
	v_cndmask_b32_e64 v2, 0, 1, vcc_lo
	v_lshl_or_b32 v18, v19, 12, v5
	v_cmp_gt_i32_e32 vcc_lo, 1, v19
	v_and_b32_e32 v21, 0xffff, v15
	v_lshrrev_b32_e32 v17, 8, v8
	v_or_b32_e32 v2, v29, v2
	s_delay_alu instid0(VALU_DEP_3) | instskip(SKIP_1) | instid1(VALU_DEP_2)
	v_lshl_or_b32 v20, v20, 16, v21
	s_wait_alu 0xfffd
	v_cndmask_b32_e32 v16, v18, v2, vcc_lo
	v_cmp_ne_u32_e32 vcc_lo, 0, v7
	v_mov_b32_e32 v2, v10
	v_cvt_f64_f32_e32 v[10:11], v3
	v_bfe_u32 v18, v8, 20, 11
	v_and_b32_e32 v15, 7, v16
	s_wait_alu 0xfffd
	v_cndmask_b32_e64 v7, 0, 1, vcc_lo
	v_mad_co_u64_u32 v[2:3], null, s21, 56, v[2:3]
	v_sub_nc_u32_e32 v3, 0x3f1, v18
	v_cmp_lt_i32_e32 vcc_lo, 5, v15
	v_cmp_eq_u32_e64 s0, 3, v15
	v_lshrrev_b32_e32 v15, 2, v16
	v_and_or_b32 v7, 0xffe, v17, v7
	v_mul_f16_e32 v17, v22, v24
	v_med3_i32 v3, v3, 0, 13
	s_or_b32 vcc_lo, s0, vcc_lo
	v_lshrrev_b32_e32 v8, 16, v8
	s_wait_alu 0xfffe
	v_add_co_ci_u32_e32 v15, vcc_lo, 0, v15, vcc_lo
	v_or_b32_e32 v26, 0x1000, v7
	v_fmac_f16_e32 v17, v4, v30
	v_cmp_ne_u32_e32 vcc_lo, 0, v5
	v_and_or_b32 v13, 0x1ff, v14, v13
	v_mul_f16_e32 v4, v4, v24
	v_lshrrev_b32_e32 v24, 8, v14
	v_cvt_f32_f16_e32 v16, v17
	s_wait_alu 0xfffd
	v_cndmask_b32_e64 v5, 0, 1, vcc_lo
	v_lshrrev_b32_e32 v17, v3, v26
	v_cmp_gt_i32_e32 vcc_lo, 31, v19
	v_fma_f16 v22, v30, v22, -v4
	v_add_nc_u32_e32 v30, 0xfffffc10, v18
	v_bfe_u32 v29, v14, 20, 11
	s_wait_alu 0xfffd
	v_dual_cndmask_b32 v28, 0x7c00, v15 :: v_dual_lshlrev_b32 v3, v3, v17
	v_cmp_ne_u32_e32 vcc_lo, 0, v13
	v_cvt_f64_f32_e32 v[15:16], v16
	v_lshl_or_b32 v5, v5, 9, 0x7c00
	v_lshrrev_b32_e32 v14, 16, v14
	s_wait_alu 0xfffd
	v_cndmask_b32_e64 v13, 0, 1, vcc_lo
	v_cmp_ne_u32_e32 vcc_lo, v3, v26
	v_mul_f64_e32 v[3:4], s[28:29], v[10:11]
	v_cvt_f32_f16_e32 v11, v22
	v_sub_nc_u32_e32 v10, 0x3f1, v29
	v_and_or_b32 v13, 0xffe, v24, v13
	s_wait_alu 0xfffd
	v_cndmask_b32_e64 v26, 0, 1, vcc_lo
	v_lshl_or_b32 v24, v30, 12, v7
	v_cmp_gt_i32_e32 vcc_lo, 1, v30
	v_med3_i32 v31, v10, 0, 13
	v_mov_b32_e32 v10, v2
	v_or_b32_e32 v22, v17, v26
	v_cvt_f64_f32_e32 v[17:18], v11
	v_or_b32_e32 v26, 0x1000, v13
	s_wait_alu 0xfffd
	s_delay_alu instid0(VALU_DEP_3) | instskip(SKIP_1) | instid1(VALU_DEP_3)
	v_cndmask_b32_e32 v11, v24, v22, vcc_lo
	v_cmp_eq_u32_e32 vcc_lo, 0x40f, v19
	v_lshrrev_b32_e32 v19, v31, v26
	s_wait_alu 0xfffd
	s_delay_alu instid0(VALU_DEP_3) | instskip(SKIP_1) | instid1(VALU_DEP_3)
	v_dual_cndmask_b32 v5, v28, v5 :: v_dual_and_b32 v22, 7, v11
	v_lshrrev_b32_e32 v11, 2, v11
	v_lshlrev_b32_e32 v2, v31, v19
	s_delay_alu instid0(VALU_DEP_3) | instskip(SKIP_2) | instid1(VALU_DEP_4)
	v_cmp_lt_i32_e32 vcc_lo, 5, v22
	v_cmp_eq_u32_e64 s0, 3, v22
	v_and_or_b32 v21, 0x8000, v6, v5
	v_cmp_ne_u32_e64 s1, v2, v26
	v_add_nc_u32_e32 v22, 0xfffffc10, v29
	s_delay_alu instid0(VALU_DEP_4)
	s_or_b32 vcc_lo, s0, vcc_lo
	s_wait_alu 0xfffe
	v_add_co_ci_u32_e32 v11, vcc_lo, 0, v11, vcc_lo
	v_cmp_ne_u32_e32 vcc_lo, 0, v7
	v_mul_f64_e32 v[5:6], s[28:29], v[15:16]
	v_cndmask_b32_e64 v2, 0, 1, s1
	v_lshl_or_b32 v15, v22, 12, v13
	s_wait_alu 0xfffd
	v_cndmask_b32_e64 v7, 0, 1, vcc_lo
	v_cmp_gt_i32_e32 vcc_lo, 31, v30
	v_or_b32_e32 v2, v19, v2
	v_lshrrev_b32_e32 v19, 8, v4
	s_delay_alu instid0(VALU_DEP_4)
	v_lshl_or_b32 v7, v7, 9, 0x7c00
	s_wait_alu 0xfffd
	v_cndmask_b32_e32 v11, 0x7c00, v11, vcc_lo
	v_cmp_gt_i32_e32 vcc_lo, 1, v22
	s_wait_alu 0xfffd
	v_cndmask_b32_e32 v15, v15, v2, vcc_lo
	v_cmp_eq_u32_e32 vcc_lo, 0x40f, v30
	v_and_or_b32 v2, 0x1ff, v4, v3
	s_wait_alu 0xfffd
	v_cndmask_b32_e32 v7, v11, v7, vcc_lo
	s_delay_alu instid0(VALU_DEP_2)
	v_cmp_ne_u32_e32 vcc_lo, 0, v2
	v_and_b32_e32 v11, 7, v15
	v_mul_f64_e32 v[2:3], s[28:29], v[17:18]
	v_bfe_u32 v17, v4, 20, 11
	v_and_or_b32 v7, 0x8000, v8, v7
	v_and_b32_e32 v8, 0xffff, v21
	s_wait_alu 0xfffd
	v_cndmask_b32_e64 v16, 0, 1, vcc_lo
	v_cmp_lt_i32_e32 vcc_lo, 5, v11
	v_cmp_eq_u32_e64 s0, 3, v11
	v_sub_nc_u32_e32 v18, 0x3f1, v17
	v_lshl_or_b32 v8, v7, 16, v8
	v_lshrrev_b32_e32 v7, 2, v15
	v_and_or_b32 v16, 0xffe, v19, v16
	s_or_b32 vcc_lo, s0, vcc_lo
	v_med3_i32 v15, v18, 0, 13
	v_and_or_b32 v5, 0x1ff, v6, v5
	s_wait_alu 0xfffe
	v_add_co_ci_u32_e32 v7, vcc_lo, 0, v7, vcc_lo
	v_or_b32_e32 v11, 0x1000, v16
	v_cmp_ne_u32_e32 vcc_lo, 0, v13
	v_lshrrev_b32_e32 v19, 8, v6
	v_bfe_u32 v21, v6, 20, 11
	v_lshrrev_b32_e32 v4, 16, v4
	v_lshrrev_b32_e32 v18, v15, v11
	s_wait_alu 0xfffd
	v_cndmask_b32_e64 v13, 0, 1, vcc_lo
	v_cmp_gt_i32_e32 vcc_lo, 31, v22
	v_lshrrev_b32_e32 v6, 16, v6
	v_lshlrev_b32_e32 v15, v15, v18
	s_delay_alu instid0(VALU_DEP_4)
	v_lshl_or_b32 v13, v13, 9, 0x7c00
	s_wait_alu 0xfffd
	v_cndmask_b32_e32 v7, 0x7c00, v7, vcc_lo
	v_cmp_ne_u32_e32 vcc_lo, 0, v5
	s_wait_alu 0xfffd
	v_cndmask_b32_e64 v5, 0, 1, vcc_lo
	v_cmp_ne_u32_e32 vcc_lo, v15, v11
	v_add_nc_u32_e32 v15, 0xfffffc10, v17
	v_sub_nc_u32_e32 v17, 0x3f1, v21
	v_and_or_b32 v2, 0x1ff, v3, v2
	v_and_or_b32 v5, 0xffe, v19, v5
	s_wait_alu 0xfffd
	v_cndmask_b32_e64 v11, 0, 1, vcc_lo
	v_cmp_eq_u32_e32 vcc_lo, 0x40f, v22
	v_med3_i32 v17, v17, 0, 13
	v_lshrrev_b32_e32 v19, 8, v3
	v_bfe_u32 v22, v3, 20, 11
	v_or_b32_e32 v11, v18, v11
	s_wait_alu 0xfffd
	v_cndmask_b32_e32 v7, v7, v13, vcc_lo
	v_lshl_or_b32 v13, v15, 12, v16
	v_or_b32_e32 v18, 0x1000, v5
	v_cmp_gt_i32_e32 vcc_lo, 1, v15
	s_delay_alu instid0(VALU_DEP_4)
	v_and_or_b32 v7, 0x8000, v14, v7
	v_sub_nc_u32_e32 v14, 0x3f1, v22
	s_wait_alu 0xfffd
	v_cndmask_b32_e32 v11, v13, v11, vcc_lo
	v_lshrrev_b32_e32 v13, v17, v18
	v_cmp_ne_u32_e32 vcc_lo, 0, v2
	v_med3_i32 v14, v14, 0, 13
	v_and_b32_e32 v7, 0xffff, v7
	v_and_b32_e32 v24, 7, v11
	v_lshlrev_b32_e32 v17, v17, v13
	s_wait_alu 0xfffd
	v_cndmask_b32_e64 v2, 0, 1, vcc_lo
	v_lshrrev_b32_e32 v11, 2, v11
	v_cmp_lt_i32_e32 vcc_lo, 5, v24
	v_cmp_ne_u32_e64 s0, v17, v18
	s_delay_alu instid0(VALU_DEP_4) | instskip(SKIP_2) | instid1(VALU_DEP_3)
	v_and_or_b32 v2, 0xffe, v19, v2
	v_add_nc_u32_e32 v19, 0xfffffc10, v21
	s_wait_alu 0xf1ff
	v_cndmask_b32_e64 v17, 0, 1, s0
	v_cmp_eq_u32_e64 s0, 3, v24
	v_or_b32_e32 v18, 0x1000, v2
	v_lshl_or_b32 v21, v19, 12, v5
	s_delay_alu instid0(VALU_DEP_4) | instskip(NEXT) | instid1(VALU_DEP_4)
	v_or_b32_e32 v13, v13, v17
	s_or_b32 vcc_lo, s0, vcc_lo
	s_delay_alu instid0(VALU_DEP_3) | instskip(SKIP_3) | instid1(VALU_DEP_3)
	v_lshrrev_b32_e32 v17, v14, v18
	s_wait_alu 0xfffe
	v_add_co_ci_u32_e32 v11, vcc_lo, 0, v11, vcc_lo
	v_cmp_gt_i32_e32 vcc_lo, 1, v19
	v_lshlrev_b32_e32 v14, v14, v17
	s_wait_alu 0xfffd
	v_cndmask_b32_e32 v13, v21, v13, vcc_lo
	v_cmp_ne_u32_e32 vcc_lo, 0, v16
	s_delay_alu instid0(VALU_DEP_2)
	v_and_b32_e32 v21, 7, v13
	s_wait_alu 0xfffd
	v_cndmask_b32_e64 v16, 0, 1, vcc_lo
	v_cmp_ne_u32_e32 vcc_lo, v14, v18
	v_add_nc_u32_e32 v18, 0xfffffc10, v22
	v_lshrrev_b32_e32 v13, 2, v13
	v_cmp_eq_u32_e64 s0, 3, v21
	v_lshl_or_b32 v16, v16, 9, 0x7c00
	s_wait_alu 0xfffd
	v_cndmask_b32_e64 v14, 0, 1, vcc_lo
	v_cmp_gt_i32_e32 vcc_lo, 31, v15
	v_cmp_gt_i32_e64 s1, 1, v18
	s_delay_alu instid0(VALU_DEP_3)
	v_or_b32_e32 v14, v17, v14
	v_lshl_or_b32 v17, v18, 12, v2
	s_wait_alu 0xfffd
	v_cndmask_b32_e32 v11, 0x7c00, v11, vcc_lo
	v_cmp_lt_i32_e32 vcc_lo, 5, v21
	s_wait_alu 0xf1ff
	v_cndmask_b32_e64 v14, v17, v14, s1
	v_cmp_eq_u32_e64 s1, 0x40f, v15
	s_or_b32 vcc_lo, s0, vcc_lo
	s_wait_alu 0xfffe
	v_add_co_ci_u32_e32 v13, vcc_lo, 0, v13, vcc_lo
	v_and_b32_e32 v15, 7, v14
	v_cmp_ne_u32_e32 vcc_lo, 0, v5
	v_lshrrev_b32_e32 v14, 2, v14
	v_cndmask_b32_e64 v11, v11, v16, s1
	v_cmp_gt_i32_e64 s1, 31, v19
	v_cmp_eq_u32_e64 s0, 3, v15
	s_wait_alu 0xfffd
	v_cndmask_b32_e64 v5, 0, 1, vcc_lo
	v_cmp_lt_i32_e32 vcc_lo, 5, v15
	v_and_or_b32 v4, 0x8000, v4, v11
	s_wait_alu 0xf1ff
	v_cndmask_b32_e64 v13, 0x7c00, v13, s1
	v_lshrrev_b32_e32 v11, 16, v3
	v_lshl_or_b32 v5, v5, 9, 0x7c00
	s_or_b32 vcc_lo, s0, vcc_lo
	s_wait_alu 0xfffe
	v_add_co_ci_u32_e32 v14, vcc_lo, 0, v14, vcc_lo
	v_cmp_ne_u32_e32 vcc_lo, 0, v2
	s_wait_alu 0xfffd
	v_cndmask_b32_e64 v2, 0, 1, vcc_lo
	v_cmp_eq_u32_e32 vcc_lo, 0x40f, v19
	s_delay_alu instid0(VALU_DEP_2) | instskip(SKIP_3) | instid1(VALU_DEP_2)
	v_lshl_or_b32 v2, v2, 9, 0x7c00
	s_wait_alu 0xfffd
	v_cndmask_b32_e32 v5, v13, v5, vcc_lo
	v_cmp_gt_i32_e32 vcc_lo, 31, v18
	v_and_or_b32 v5, 0x8000, v6, v5
	s_wait_alu 0xfffd
	v_cndmask_b32_e32 v13, 0x7c00, v14, vcc_lo
	v_cmp_eq_u32_e32 vcc_lo, 0x40f, v18
	s_wait_alu 0xfffd
	s_delay_alu instid0(VALU_DEP_2)
	v_cndmask_b32_e32 v6, v13, v2, vcc_lo
	v_add_co_u32 v2, vcc_lo, v9, s26
	s_wait_alu 0xfffd
	v_add_co_ci_u32_e32 v3, vcc_lo, s27, v10, vcc_lo
	v_lshl_or_b32 v13, v4, 16, v7
	v_and_or_b32 v6, 0x8000, v11, v6
	v_and_b32_e32 v7, 0xffff, v5
	v_add_co_u32 v4, vcc_lo, v2, s26
	s_wait_alu 0xfffd
	v_add_co_ci_u32_e32 v5, vcc_lo, s27, v3, vcc_lo
	s_delay_alu instid0(VALU_DEP_3) | instskip(NEXT) | instid1(VALU_DEP_3)
	v_lshl_or_b32 v11, v6, 16, v7
	v_add_co_u32 v6, vcc_lo, v4, s26
	s_wait_alu 0xfffd
	s_delay_alu instid0(VALU_DEP_3)
	v_add_co_ci_u32_e32 v7, vcc_lo, s27, v5, vcc_lo
	global_store_b32 v[0:1], v27, off
	global_store_b32 v[9:10], v20, off
	;; [unrolled: 1-line block ×5, first 2 shown]
	global_load_b32 v2, v23, s[24:25] offset:364
	ds_load_2addr_b32 v[0:1], v25 offset0:91 offset1:98
	s_wait_dscnt 0x0
	v_lshrrev_b32_e32 v3, 16, v0
	s_wait_loadcnt 0x0
	v_lshrrev_b32_e32 v4, 16, v2
	s_delay_alu instid0(VALU_DEP_1) | instskip(SKIP_1) | instid1(VALU_DEP_2)
	v_mul_f16_e32 v5, v3, v4
	v_mul_f16_e32 v4, v0, v4
	v_fmac_f16_e32 v5, v0, v2
	s_delay_alu instid0(VALU_DEP_2) | instskip(NEXT) | instid1(VALU_DEP_2)
	v_fma_f16 v0, v2, v3, -v4
	v_cvt_f32_f16_e32 v2, v5
	s_delay_alu instid0(VALU_DEP_2) | instskip(NEXT) | instid1(VALU_DEP_2)
	v_cvt_f32_f16_e32 v0, v0
	v_cvt_f64_f32_e32 v[2:3], v2
	s_delay_alu instid0(VALU_DEP_2) | instskip(NEXT) | instid1(VALU_DEP_2)
	v_cvt_f64_f32_e32 v[4:5], v0
	v_mul_f64_e32 v[2:3], s[28:29], v[2:3]
	s_delay_alu instid0(VALU_DEP_2) | instskip(NEXT) | instid1(VALU_DEP_2)
	v_mul_f64_e32 v[4:5], s[28:29], v[4:5]
	v_and_or_b32 v0, 0x1ff, v3, v2
	s_delay_alu instid0(VALU_DEP_2)
	v_and_or_b32 v2, 0x1ff, v5, v4
	v_lshrrev_b32_e32 v4, 8, v3
	v_bfe_u32 v8, v3, 20, 11
	v_lshrrev_b32_e32 v9, 8, v5
	v_cmp_ne_u32_e32 vcc_lo, 0, v0
	v_bfe_u32 v10, v5, 20, 11
	v_lshrrev_b32_e32 v3, 16, v3
	s_wait_alu 0xfffd
	v_cndmask_b32_e64 v0, 0, 1, vcc_lo
	v_cmp_ne_u32_e32 vcc_lo, 0, v2
	s_delay_alu instid0(VALU_DEP_2)
	v_and_or_b32 v0, 0xffe, v4, v0
	s_wait_alu 0xfffd
	v_cndmask_b32_e64 v2, 0, 1, vcc_lo
	v_sub_nc_u32_e32 v4, 0x3f1, v8
	v_add_nc_u32_e32 v8, 0xfffffc10, v8
	v_or_b32_e32 v11, 0x1000, v0
	s_delay_alu instid0(VALU_DEP_4) | instskip(SKIP_3) | instid1(VALU_DEP_4)
	v_and_or_b32 v2, 0xffe, v9, v2
	v_sub_nc_u32_e32 v9, 0x3f1, v10
	v_med3_i32 v4, v4, 0, 13
	v_add_nc_u32_e32 v10, 0xfffffc10, v10
	v_or_b32_e32 v13, 0x1000, v2
	s_delay_alu instid0(VALU_DEP_4) | instskip(NEXT) | instid1(VALU_DEP_4)
	v_med3_i32 v9, v9, 0, 13
	v_lshrrev_b32_e32 v14, v4, v11
	s_delay_alu instid0(VALU_DEP_2) | instskip(NEXT) | instid1(VALU_DEP_2)
	v_lshrrev_b32_e32 v15, v9, v13
	v_lshlrev_b32_e32 v4, v4, v14
	s_delay_alu instid0(VALU_DEP_2) | instskip(NEXT) | instid1(VALU_DEP_2)
	v_lshlrev_b32_e32 v9, v9, v15
	v_cmp_ne_u32_e32 vcc_lo, v4, v11
	v_lshl_or_b32 v11, v8, 12, v0
	s_wait_alu 0xfffd
	v_cndmask_b32_e64 v4, 0, 1, vcc_lo
	v_cmp_ne_u32_e32 vcc_lo, v9, v13
	v_lshl_or_b32 v13, v10, 12, v2
	s_delay_alu instid0(VALU_DEP_3) | instskip(SKIP_3) | instid1(VALU_DEP_2)
	v_or_b32_e32 v4, v14, v4
	s_wait_alu 0xfffd
	v_cndmask_b32_e64 v9, 0, 1, vcc_lo
	v_cmp_gt_i32_e32 vcc_lo, 1, v8
	v_or_b32_e32 v9, v15, v9
	s_wait_alu 0xfffd
	v_cndmask_b32_e32 v4, v11, v4, vcc_lo
	v_cmp_gt_i32_e32 vcc_lo, 1, v10
	s_delay_alu instid0(VALU_DEP_2) | instskip(SKIP_3) | instid1(VALU_DEP_3)
	v_and_b32_e32 v11, 7, v4
	s_wait_alu 0xfffd
	v_cndmask_b32_e32 v9, v13, v9, vcc_lo
	v_lshrrev_b32_e32 v4, 2, v4
	v_cmp_lt_i32_e32 vcc_lo, 5, v11
	v_cmp_eq_u32_e64 s0, 3, v11
	s_delay_alu instid0(VALU_DEP_4) | instskip(SKIP_1) | instid1(VALU_DEP_3)
	v_and_b32_e32 v13, 7, v9
	v_lshrrev_b32_e32 v9, 2, v9
	s_or_b32 vcc_lo, s0, vcc_lo
	s_delay_alu instid0(VALU_DEP_2)
	v_cmp_lt_i32_e64 s1, 5, v13
	s_wait_alu 0xfffe
	v_add_co_ci_u32_e32 v4, vcc_lo, 0, v4, vcc_lo
	v_cmp_eq_u32_e64 s2, 3, v13
	v_cmp_ne_u32_e32 vcc_lo, 0, v0
	s_wait_alu 0xfffd
	v_cndmask_b32_e64 v0, 0, 1, vcc_lo
	s_delay_alu instid0(VALU_DEP_3)
	s_or_b32 vcc_lo, s2, s1
	s_wait_alu 0xfffe
	v_add_co_ci_u32_e32 v9, vcc_lo, 0, v9, vcc_lo
	v_cmp_ne_u32_e32 vcc_lo, 0, v2
	v_lshl_or_b32 v0, v0, 9, 0x7c00
	s_wait_alu 0xfffd
	v_cndmask_b32_e64 v2, 0, 1, vcc_lo
	v_cmp_gt_i32_e32 vcc_lo, 31, v8
	s_delay_alu instid0(VALU_DEP_2)
	v_lshl_or_b32 v2, v2, 9, 0x7c00
	s_wait_alu 0xfffd
	v_cndmask_b32_e32 v4, 0x7c00, v4, vcc_lo
	v_cmp_gt_i32_e32 vcc_lo, 31, v10
	s_wait_alu 0xfffd
	v_cndmask_b32_e32 v9, 0x7c00, v9, vcc_lo
	v_cmp_eq_u32_e32 vcc_lo, 0x40f, v8
	s_wait_alu 0xfffd
	v_cndmask_b32_e32 v0, v4, v0, vcc_lo
	v_cmp_eq_u32_e32 vcc_lo, 0x40f, v10
	v_lshrrev_b32_e32 v4, 16, v5
	s_delay_alu instid0(VALU_DEP_3) | instskip(SKIP_2) | instid1(VALU_DEP_2)
	v_and_or_b32 v0, 0x8000, v3, v0
	s_wait_alu 0xfffd
	v_cndmask_b32_e32 v2, v9, v2, vcc_lo
	v_and_b32_e32 v0, 0xffff, v0
	s_delay_alu instid0(VALU_DEP_2) | instskip(SKIP_1) | instid1(VALU_DEP_2)
	v_and_or_b32 v2, 0x8000, v4, v2
	v_lshrrev_b32_e32 v4, 16, v1
	v_lshl_or_b32 v0, v2, 16, v0
	v_add_co_u32 v2, vcc_lo, v6, s26
	s_wait_alu 0xfffd
	v_add_co_ci_u32_e32 v3, vcc_lo, s27, v7, vcc_lo
	global_store_b32 v[2:3], v0, off
	global_load_b32 v0, v23, s[24:25] offset:392
	s_wait_loadcnt 0x0
	v_lshrrev_b32_e32 v5, 16, v0
	s_delay_alu instid0(VALU_DEP_1) | instskip(SKIP_1) | instid1(VALU_DEP_2)
	v_mul_f16_e32 v6, v4, v5
	v_mul_f16_e32 v5, v1, v5
	v_fmac_f16_e32 v6, v1, v0
	s_delay_alu instid0(VALU_DEP_2) | instskip(NEXT) | instid1(VALU_DEP_2)
	v_fma_f16 v0, v0, v4, -v5
	v_cvt_f32_f16_e32 v1, v6
	s_delay_alu instid0(VALU_DEP_2) | instskip(NEXT) | instid1(VALU_DEP_2)
	v_cvt_f32_f16_e32 v4, v0
	v_cvt_f64_f32_e32 v[0:1], v1
	s_delay_alu instid0(VALU_DEP_2) | instskip(NEXT) | instid1(VALU_DEP_2)
	v_cvt_f64_f32_e32 v[4:5], v4
	v_mul_f64_e32 v[0:1], s[28:29], v[0:1]
	s_delay_alu instid0(VALU_DEP_2) | instskip(NEXT) | instid1(VALU_DEP_2)
	v_mul_f64_e32 v[4:5], s[28:29], v[4:5]
	v_and_or_b32 v0, 0x1ff, v1, v0
	s_delay_alu instid0(VALU_DEP_2)
	v_and_or_b32 v4, 0x1ff, v5, v4
	v_lshrrev_b32_e32 v6, 8, v1
	v_bfe_u32 v7, v1, 20, 11
	v_lshrrev_b32_e32 v8, 8, v5
	v_cmp_ne_u32_e32 vcc_lo, 0, v0
	v_bfe_u32 v9, v5, 20, 11
	v_lshrrev_b32_e32 v1, 16, v1
	v_sub_nc_u32_e32 v10, 0x3f1, v7
	v_add_nc_u32_e32 v7, 0xfffffc10, v7
	s_wait_alu 0xfffd
	v_cndmask_b32_e64 v0, 0, 1, vcc_lo
	v_cmp_ne_u32_e32 vcc_lo, 0, v4
	v_lshrrev_b32_e32 v5, 16, v5
	s_delay_alu instid0(VALU_DEP_3) | instskip(SKIP_4) | instid1(VALU_DEP_3)
	v_and_or_b32 v0, 0xffe, v6, v0
	s_wait_alu 0xfffd
	v_cndmask_b32_e64 v4, 0, 1, vcc_lo
	v_sub_nc_u32_e32 v6, 0x3f1, v9
	v_add_nc_u32_e32 v9, 0xfffffc10, v9
	v_and_or_b32 v4, 0xffe, v8, v4
	v_med3_i32 v8, v10, 0, 13
	v_or_b32_e32 v10, 0x1000, v0
	v_med3_i32 v6, v6, 0, 13
	s_delay_alu instid0(VALU_DEP_4) | instskip(NEXT) | instid1(VALU_DEP_3)
	v_or_b32_e32 v11, 0x1000, v4
	v_lshrrev_b32_e32 v13, v8, v10
	s_delay_alu instid0(VALU_DEP_2) | instskip(NEXT) | instid1(VALU_DEP_2)
	v_lshrrev_b32_e32 v14, v6, v11
	v_lshlrev_b32_e32 v8, v8, v13
	s_delay_alu instid0(VALU_DEP_2) | instskip(NEXT) | instid1(VALU_DEP_2)
	v_lshlrev_b32_e32 v6, v6, v14
	v_cmp_ne_u32_e32 vcc_lo, v8, v10
	v_lshl_or_b32 v10, v7, 12, v0
	s_wait_alu 0xfffd
	v_cndmask_b32_e64 v8, 0, 1, vcc_lo
	v_cmp_ne_u32_e32 vcc_lo, v6, v11
	v_lshl_or_b32 v11, v9, 12, v4
	s_delay_alu instid0(VALU_DEP_3) | instskip(SKIP_3) | instid1(VALU_DEP_2)
	v_or_b32_e32 v8, v13, v8
	s_wait_alu 0xfffd
	v_cndmask_b32_e64 v6, 0, 1, vcc_lo
	v_cmp_gt_i32_e32 vcc_lo, 1, v7
	v_or_b32_e32 v6, v14, v6
	s_wait_alu 0xfffd
	v_cndmask_b32_e32 v8, v10, v8, vcc_lo
	v_cmp_gt_i32_e32 vcc_lo, 1, v9
	s_delay_alu instid0(VALU_DEP_2)
	v_and_b32_e32 v10, 7, v8
	s_wait_alu 0xfffd
	v_cndmask_b32_e32 v6, v11, v6, vcc_lo
	v_cmp_ne_u32_e32 vcc_lo, 0, v0
	v_lshrrev_b32_e32 v8, 2, v8
	v_cmp_eq_u32_e64 s0, 3, v10
	s_delay_alu instid0(VALU_DEP_4)
	v_and_b32_e32 v11, 7, v6
	s_wait_alu 0xfffd
	v_cndmask_b32_e64 v0, 0, 1, vcc_lo
	v_cmp_ne_u32_e32 vcc_lo, 0, v4
	v_lshrrev_b32_e32 v6, 2, v6
	v_cmp_lt_i32_e64 s1, 5, v11
	v_cmp_eq_u32_e64 s2, 3, v11
	s_wait_alu 0xfffd
	v_cndmask_b32_e64 v4, 0, 1, vcc_lo
	v_cmp_lt_i32_e32 vcc_lo, 5, v10
	v_lshl_or_b32 v0, v0, 9, 0x7c00
	s_delay_alu instid0(VALU_DEP_3)
	v_lshl_or_b32 v4, v4, 9, 0x7c00
	s_or_b32 vcc_lo, s0, vcc_lo
	s_wait_alu 0xfffe
	v_add_co_ci_u32_e32 v8, vcc_lo, 0, v8, vcc_lo
	s_or_b32 vcc_lo, s2, s1
	s_wait_alu 0xfffe
	v_add_co_ci_u32_e32 v6, vcc_lo, 0, v6, vcc_lo
	v_cmp_gt_i32_e32 vcc_lo, 31, v7
	s_wait_alu 0xfffd
	v_cndmask_b32_e32 v8, 0x7c00, v8, vcc_lo
	v_cmp_gt_i32_e32 vcc_lo, 31, v9
	s_wait_alu 0xfffd
	v_cndmask_b32_e32 v6, 0x7c00, v6, vcc_lo
	v_cmp_eq_u32_e32 vcc_lo, 0x40f, v7
	s_wait_alu 0xfffd
	v_cndmask_b32_e32 v0, v8, v0, vcc_lo
	v_cmp_eq_u32_e32 vcc_lo, 0x40f, v9
	s_delay_alu instid0(VALU_DEP_2) | instskip(SKIP_2) | instid1(VALU_DEP_1)
	v_and_or_b32 v0, 0x8000, v1, v0
	s_wait_alu 0xfffd
	v_cndmask_b32_e32 v4, v6, v4, vcc_lo
	v_and_or_b32 v4, 0x8000, v5, v4
	s_delay_alu instid0(VALU_DEP_3) | instskip(SKIP_3) | instid1(VALU_DEP_3)
	v_and_b32_e32 v5, 0xffff, v0
	v_add_co_u32 v0, vcc_lo, v2, s26
	s_wait_alu 0xfffd
	v_add_co_ci_u32_e32 v1, vcc_lo, s27, v3, vcc_lo
	v_lshl_or_b32 v2, v4, 16, v5
	v_lshrrev_b32_e32 v3, 16, v12
	global_store_b32 v[0:1], v2, off
	global_load_b32 v2, v23, s[24:25] offset:420
	s_wait_loadcnt 0x0
	v_lshrrev_b32_e32 v4, 16, v2
	s_delay_alu instid0(VALU_DEP_1) | instskip(SKIP_1) | instid1(VALU_DEP_2)
	v_mul_f16_e32 v5, v3, v4
	v_mul_f16_e32 v4, v12, v4
	v_fmac_f16_e32 v5, v12, v2
	s_delay_alu instid0(VALU_DEP_2) | instskip(NEXT) | instid1(VALU_DEP_2)
	v_fma_f16 v2, v2, v3, -v4
	v_cvt_f32_f16_e32 v3, v5
	s_delay_alu instid0(VALU_DEP_2) | instskip(NEXT) | instid1(VALU_DEP_2)
	v_cvt_f32_f16_e32 v4, v2
	v_cvt_f64_f32_e32 v[2:3], v3
	s_delay_alu instid0(VALU_DEP_2) | instskip(NEXT) | instid1(VALU_DEP_2)
	v_cvt_f64_f32_e32 v[4:5], v4
	v_mul_f64_e32 v[2:3], s[28:29], v[2:3]
	s_delay_alu instid0(VALU_DEP_2) | instskip(NEXT) | instid1(VALU_DEP_2)
	v_mul_f64_e32 v[4:5], s[28:29], v[4:5]
	v_and_or_b32 v2, 0x1ff, v3, v2
	s_delay_alu instid0(VALU_DEP_2)
	v_and_or_b32 v4, 0x1ff, v5, v4
	v_lshrrev_b32_e32 v6, 8, v3
	v_bfe_u32 v7, v3, 20, 11
	v_lshrrev_b32_e32 v8, 8, v5
	v_cmp_ne_u32_e32 vcc_lo, 0, v2
	v_bfe_u32 v9, v5, 20, 11
	v_lshrrev_b32_e32 v3, 16, v3
	v_sub_nc_u32_e32 v10, 0x3f1, v7
	v_add_nc_u32_e32 v7, 0xfffffc10, v7
	s_wait_alu 0xfffd
	v_cndmask_b32_e64 v2, 0, 1, vcc_lo
	v_cmp_ne_u32_e32 vcc_lo, 0, v4
	v_lshrrev_b32_e32 v5, 16, v5
	s_delay_alu instid0(VALU_DEP_3) | instskip(SKIP_4) | instid1(VALU_DEP_3)
	v_and_or_b32 v2, 0xffe, v6, v2
	s_wait_alu 0xfffd
	v_cndmask_b32_e64 v4, 0, 1, vcc_lo
	v_sub_nc_u32_e32 v6, 0x3f1, v9
	v_add_nc_u32_e32 v9, 0xfffffc10, v9
	v_and_or_b32 v4, 0xffe, v8, v4
	v_med3_i32 v8, v10, 0, 13
	v_or_b32_e32 v10, 0x1000, v2
	v_med3_i32 v6, v6, 0, 13
	s_delay_alu instid0(VALU_DEP_4) | instskip(NEXT) | instid1(VALU_DEP_3)
	v_or_b32_e32 v11, 0x1000, v4
	v_lshrrev_b32_e32 v12, v8, v10
	s_delay_alu instid0(VALU_DEP_2) | instskip(NEXT) | instid1(VALU_DEP_2)
	v_lshrrev_b32_e32 v13, v6, v11
	v_lshlrev_b32_e32 v8, v8, v12
	s_delay_alu instid0(VALU_DEP_2) | instskip(NEXT) | instid1(VALU_DEP_2)
	v_lshlrev_b32_e32 v6, v6, v13
	v_cmp_ne_u32_e32 vcc_lo, v8, v10
	v_lshl_or_b32 v10, v7, 12, v2
	s_wait_alu 0xfffd
	v_cndmask_b32_e64 v8, 0, 1, vcc_lo
	v_cmp_ne_u32_e32 vcc_lo, v6, v11
	v_lshl_or_b32 v11, v9, 12, v4
	s_delay_alu instid0(VALU_DEP_3) | instskip(SKIP_3) | instid1(VALU_DEP_2)
	v_or_b32_e32 v8, v12, v8
	s_wait_alu 0xfffd
	v_cndmask_b32_e64 v6, 0, 1, vcc_lo
	v_cmp_gt_i32_e32 vcc_lo, 1, v7
	v_or_b32_e32 v6, v13, v6
	s_wait_alu 0xfffd
	v_cndmask_b32_e32 v8, v10, v8, vcc_lo
	v_cmp_gt_i32_e32 vcc_lo, 1, v9
	s_delay_alu instid0(VALU_DEP_2)
	v_and_b32_e32 v10, 7, v8
	s_wait_alu 0xfffd
	v_cndmask_b32_e32 v6, v11, v6, vcc_lo
	v_cmp_ne_u32_e32 vcc_lo, 0, v2
	v_lshrrev_b32_e32 v8, 2, v8
	v_cmp_eq_u32_e64 s0, 3, v10
	s_delay_alu instid0(VALU_DEP_4)
	v_and_b32_e32 v11, 7, v6
	s_wait_alu 0xfffd
	v_cndmask_b32_e64 v2, 0, 1, vcc_lo
	v_cmp_ne_u32_e32 vcc_lo, 0, v4
	v_lshrrev_b32_e32 v6, 2, v6
	v_cmp_lt_i32_e64 s1, 5, v11
	v_cmp_eq_u32_e64 s2, 3, v11
	s_wait_alu 0xfffd
	v_cndmask_b32_e64 v4, 0, 1, vcc_lo
	v_cmp_lt_i32_e32 vcc_lo, 5, v10
	v_lshl_or_b32 v2, v2, 9, 0x7c00
	s_delay_alu instid0(VALU_DEP_3)
	v_lshl_or_b32 v4, v4, 9, 0x7c00
	s_or_b32 vcc_lo, s0, vcc_lo
	s_wait_alu 0xfffe
	v_add_co_ci_u32_e32 v8, vcc_lo, 0, v8, vcc_lo
	s_or_b32 vcc_lo, s2, s1
	s_wait_alu 0xfffe
	v_add_co_ci_u32_e32 v6, vcc_lo, 0, v6, vcc_lo
	v_cmp_gt_i32_e32 vcc_lo, 31, v7
	s_wait_alu 0xfffd
	v_cndmask_b32_e32 v8, 0x7c00, v8, vcc_lo
	v_cmp_gt_i32_e32 vcc_lo, 31, v9
	s_wait_alu 0xfffd
	v_cndmask_b32_e32 v6, 0x7c00, v6, vcc_lo
	v_cmp_eq_u32_e32 vcc_lo, 0x40f, v7
	s_wait_alu 0xfffd
	v_cndmask_b32_e32 v2, v8, v2, vcc_lo
	v_cmp_eq_u32_e32 vcc_lo, 0x40f, v9
	s_delay_alu instid0(VALU_DEP_2)
	v_and_or_b32 v2, 0x8000, v3, v2
	s_wait_alu 0xfffd
	v_cndmask_b32_e32 v4, v6, v4, vcc_lo
	v_add_co_u32 v0, vcc_lo, v0, s26
	s_wait_alu 0xfffd
	v_add_co_ci_u32_e32 v1, vcc_lo, s27, v1, vcc_lo
	v_and_b32_e32 v2, 0xffff, v2
	v_and_or_b32 v3, 0x8000, v5, v4
	s_delay_alu instid0(VALU_DEP_1)
	v_lshl_or_b32 v2, v3, 16, v2
	global_store_b32 v[0:1], v2, off
.LBB0_15:
	s_nop 0
	s_sendmsg sendmsg(MSG_DEALLOC_VGPRS)
	s_endpgm
	.section	.rodata,"a",@progbits
	.p2align	6, 0x0
	.amdhsa_kernel bluestein_single_fwd_len112_dim1_half_op_CI_CI
		.amdhsa_group_segment_fixed_size 7168
		.amdhsa_private_segment_fixed_size 0
		.amdhsa_kernarg_size 104
		.amdhsa_user_sgpr_count 2
		.amdhsa_user_sgpr_dispatch_ptr 0
		.amdhsa_user_sgpr_queue_ptr 0
		.amdhsa_user_sgpr_kernarg_segment_ptr 1
		.amdhsa_user_sgpr_dispatch_id 0
		.amdhsa_user_sgpr_private_segment_size 0
		.amdhsa_wavefront_size32 1
		.amdhsa_uses_dynamic_stack 0
		.amdhsa_enable_private_segment 0
		.amdhsa_system_sgpr_workgroup_id_x 1
		.amdhsa_system_sgpr_workgroup_id_y 0
		.amdhsa_system_sgpr_workgroup_id_z 0
		.amdhsa_system_sgpr_workgroup_info 0
		.amdhsa_system_vgpr_workitem_id 0
		.amdhsa_next_free_vgpr 126
		.amdhsa_next_free_sgpr 30
		.amdhsa_reserve_vcc 1
		.amdhsa_float_round_mode_32 0
		.amdhsa_float_round_mode_16_64 0
		.amdhsa_float_denorm_mode_32 3
		.amdhsa_float_denorm_mode_16_64 3
		.amdhsa_fp16_overflow 0
		.amdhsa_workgroup_processor_mode 1
		.amdhsa_memory_ordered 1
		.amdhsa_forward_progress 0
		.amdhsa_round_robin_scheduling 0
		.amdhsa_exception_fp_ieee_invalid_op 0
		.amdhsa_exception_fp_denorm_src 0
		.amdhsa_exception_fp_ieee_div_zero 0
		.amdhsa_exception_fp_ieee_overflow 0
		.amdhsa_exception_fp_ieee_underflow 0
		.amdhsa_exception_fp_ieee_inexact 0
		.amdhsa_exception_int_div_zero 0
	.end_amdhsa_kernel
	.text
.Lfunc_end0:
	.size	bluestein_single_fwd_len112_dim1_half_op_CI_CI, .Lfunc_end0-bluestein_single_fwd_len112_dim1_half_op_CI_CI
                                        ; -- End function
	.section	.AMDGPU.csdata,"",@progbits
; Kernel info:
; codeLenInByte = 17616
; NumSgprs: 32
; NumVgprs: 126
; ScratchSize: 0
; MemoryBound: 0
; FloatMode: 240
; IeeeMode: 1
; LDSByteSize: 7168 bytes/workgroup (compile time only)
; SGPRBlocks: 3
; VGPRBlocks: 15
; NumSGPRsForWavesPerEU: 32
; NumVGPRsForWavesPerEU: 126
; Occupancy: 10
; WaveLimiterHint : 1
; COMPUTE_PGM_RSRC2:SCRATCH_EN: 0
; COMPUTE_PGM_RSRC2:USER_SGPR: 2
; COMPUTE_PGM_RSRC2:TRAP_HANDLER: 0
; COMPUTE_PGM_RSRC2:TGID_X_EN: 1
; COMPUTE_PGM_RSRC2:TGID_Y_EN: 0
; COMPUTE_PGM_RSRC2:TGID_Z_EN: 0
; COMPUTE_PGM_RSRC2:TIDIG_COMP_CNT: 0
	.text
	.p2alignl 7, 3214868480
	.fill 96, 4, 3214868480
	.type	__hip_cuid_9770f19bf4d65f2,@object ; @__hip_cuid_9770f19bf4d65f2
	.section	.bss,"aw",@nobits
	.globl	__hip_cuid_9770f19bf4d65f2
__hip_cuid_9770f19bf4d65f2:
	.byte	0                               ; 0x0
	.size	__hip_cuid_9770f19bf4d65f2, 1

	.ident	"AMD clang version 19.0.0git (https://github.com/RadeonOpenCompute/llvm-project roc-6.4.0 25133 c7fe45cf4b819c5991fe208aaa96edf142730f1d)"
	.section	".note.GNU-stack","",@progbits
	.addrsig
	.addrsig_sym __hip_cuid_9770f19bf4d65f2
	.amdgpu_metadata
---
amdhsa.kernels:
  - .args:
      - .actual_access:  read_only
        .address_space:  global
        .offset:         0
        .size:           8
        .value_kind:     global_buffer
      - .actual_access:  read_only
        .address_space:  global
        .offset:         8
        .size:           8
        .value_kind:     global_buffer
      - .actual_access:  read_only
        .address_space:  global
        .offset:         16
        .size:           8
        .value_kind:     global_buffer
      - .actual_access:  read_only
        .address_space:  global
        .offset:         24
        .size:           8
        .value_kind:     global_buffer
      - .actual_access:  read_only
        .address_space:  global
        .offset:         32
        .size:           8
        .value_kind:     global_buffer
      - .offset:         40
        .size:           8
        .value_kind:     by_value
      - .address_space:  global
        .offset:         48
        .size:           8
        .value_kind:     global_buffer
      - .address_space:  global
        .offset:         56
        .size:           8
        .value_kind:     global_buffer
      - .address_space:  global
        .offset:         64
        .size:           8
        .value_kind:     global_buffer
      - .address_space:  global
        .offset:         72
        .size:           8
        .value_kind:     global_buffer
      - .offset:         80
        .size:           4
        .value_kind:     by_value
      - .address_space:  global
        .offset:         88
        .size:           8
        .value_kind:     global_buffer
      - .address_space:  global
        .offset:         96
        .size:           8
        .value_kind:     global_buffer
    .group_segment_fixed_size: 7168
    .kernarg_segment_align: 8
    .kernarg_segment_size: 104
    .language:       OpenCL C
    .language_version:
      - 2
      - 0
    .max_flat_workgroup_size: 256
    .name:           bluestein_single_fwd_len112_dim1_half_op_CI_CI
    .private_segment_fixed_size: 0
    .sgpr_count:     32
    .sgpr_spill_count: 0
    .symbol:         bluestein_single_fwd_len112_dim1_half_op_CI_CI.kd
    .uniform_work_group_size: 1
    .uses_dynamic_stack: false
    .vgpr_count:     126
    .vgpr_spill_count: 0
    .wavefront_size: 32
    .workgroup_processor_mode: 1
amdhsa.target:   amdgcn-amd-amdhsa--gfx1201
amdhsa.version:
  - 1
  - 2
...

	.end_amdgpu_metadata
